;; amdgpu-corpus repo=ROCm/rocFFT kind=compiled arch=gfx906 opt=O3
	.text
	.amdgcn_target "amdgcn-amd-amdhsa--gfx906"
	.amdhsa_code_object_version 6
	.protected	fft_rtc_fwd_len289_factors_17_17_wgs_119_tpt_17_half_op_CI_CI_sbrc_z_xy_diag_dirReg ; -- Begin function fft_rtc_fwd_len289_factors_17_17_wgs_119_tpt_17_half_op_CI_CI_sbrc_z_xy_diag_dirReg
	.globl	fft_rtc_fwd_len289_factors_17_17_wgs_119_tpt_17_half_op_CI_CI_sbrc_z_xy_diag_dirReg
	.p2align	8
	.type	fft_rtc_fwd_len289_factors_17_17_wgs_119_tpt_17_half_op_CI_CI_sbrc_z_xy_diag_dirReg,@function
fft_rtc_fwd_len289_factors_17_17_wgs_119_tpt_17_half_op_CI_CI_sbrc_z_xy_diag_dirReg: ; @fft_rtc_fwd_len289_factors_17_17_wgs_119_tpt_17_half_op_CI_CI_sbrc_z_xy_diag_dirReg
; %bb.0:
	s_load_dwordx8 s[8:15], s[4:5], 0x0
	v_add_u16_e32 v4, 0x77, v0
	s_waitcnt lgkmcnt(0)
	s_load_dwordx4 s[0:3], s[12:13], 0x8
	s_load_dwordx4 s[16:19], s[14:15], 0x0
	s_waitcnt lgkmcnt(0)
	s_load_dword s3, s[14:15], 0x10
	s_mov_b32 s13, 0
	s_add_i32 s0, s0, -1
	s_mul_hi_u32 s1, s0, 0x24924925
	s_sub_i32 s0, s0, s1
	s_lshr_b32 s0, s0, 1
	s_add_i32 s0, s0, s1
	s_lshr_b32 s0, s0, 2
	s_add_i32 s0, s0, 1
	s_mul_i32 s2, s0, s2
	v_cvt_f32_u32_e32 v1, s2
	v_rcp_iflag_f32_e32 v1, v1
	v_mul_f32_e32 v1, 0x4f7ffffe, v1
	v_cvt_u32_f32_e32 v3, v1
	v_mad_u64_u32 v[1:2], s[0:1], s16, v0, 0
	s_sub_i32 s0, 0, s2
	v_readfirstlane_b32 s1, v3
	s_mul_i32 s0, s0, s1
	s_mul_hi_u32 s0, s1, s0
	s_add_i32 s1, s1, s0
	s_mul_hi_u32 s0, s6, s1
	s_mul_i32 s1, s0, s2
	s_sub_i32 s1, s6, s1
	s_add_i32 s7, s0, 1
	s_sub_i32 s12, s1, s2
	s_cmp_ge_u32 s1, s2
	s_cselect_b32 s0, s7, s0
	s_cselect_b32 s1, s12, s1
	s_add_i32 s7, s0, 1
	s_cmp_ge_u32 s1, s2
	s_cselect_b32 s20, s7, s0
	s_mul_i32 s0, s20, s2
	s_sub_i32 s0, s6, s0
	s_mul_hi_u32 s1, s0, 0xf0f0f0f1
	s_lshr_b32 s1, s1, 4
	s_mul_i32 s2, s1, 17
	s_sub_i32 s19, s0, s2
	s_add_i32 s1, s1, s19
	s_mul_hi_u32 s0, s1, 0xe2c4a689
	s_lshr_b32 s0, s0, 8
	s_mulk_i32 s0, 0x121
	s_mul_i32 s19, s19, 7
	s_sub_i32 s21, s1, s0
	s_mul_i32 s2, s19, s18
	s_waitcnt lgkmcnt(0)
	s_mul_i32 s0, s21, s3
	s_lshl_b64 s[10:11], s[10:11], 3
	s_add_i32 s12, s0, s2
	s_add_u32 s6, s14, s10
	s_addc_u32 s7, s15, s11
	s_load_dwordx2 s[22:23], s[6:7], 0x0
	s_load_dwordx4 s[0:3], s[4:5], 0x58
	s_load_dwordx2 s[14:15], s[4:5], 0x20
	v_mad_u64_u32 v[2:3], s[4:5], s17, v0, v[2:3]
	s_waitcnt lgkmcnt(0)
	s_mul_i32 s4, s23, s20
	s_mul_hi_u32 s5, s22, s20
	s_add_i32 s5, s5, s4
	s_add_u32 s6, s14, s10
	s_addc_u32 s7, s15, s11
	s_load_dwordx2 s[10:11], s[6:7], 0x0
	s_mul_i32 s4, s22, s20
	s_lshl_b64 s[4:5], s[4:5], 2
	v_lshlrev_b64 v[1:2], 2, v[1:2]
	s_mov_b32 s22, 0xbbdd
	s_waitcnt lgkmcnt(0)
	s_mul_i32 s6, s11, s20
	s_mul_hi_u32 s7, s10, s20
	s_add_i32 s11, s7, s6
	s_add_u32 s6, s0, s4
	s_addc_u32 s7, s1, s5
	v_mad_u64_u32 v[5:6], s[4:5], s16, v4, 0
	s_lshl_b64 s[0:1], s[12:13], 2
	s_add_u32 s0, s6, s0
	s_addc_u32 s1, s7, s1
	v_mov_b32_e32 v3, v6
	v_mov_b32_e32 v8, s1
	v_mad_u64_u32 v[6:7], s[4:5], s17, v4, v[3:4]
	v_add_co_u32_e32 v3, vcc, s0, v1
	v_add_u16_e32 v1, 0xee, v0
	v_addc_co_u32_e32 v4, vcc, v8, v2, vcc
	v_mul_u32_u24_e32 v2, 0xe3, v1
	v_lshrrev_b32_e32 v9, 16, v2
	v_mul_lo_u16_e32 v2, 0x121, v9
	v_sub_u16_e32 v10, v1, v2
	v_mad_u64_u32 v[7:8], s[4:5], s16, v10, 0
	v_mov_b32_e32 v2, 0
	v_lshlrev_b64 v[5:6], 2, v[5:6]
	v_mov_b32_e32 v1, v8
	v_mad_u64_u32 v[11:12], s[4:5], s17, v10, v[1:2]
	v_add_u16_e32 v12, 0x165, v0
	v_mov_b32_e32 v1, s1
	v_mov_b32_e32 v8, v11
	v_mul_u32_u24_e32 v11, 0xe3, v12
	v_lshrrev_b32_e32 v11, 16, v11
	v_mul_lo_u16_e32 v13, 0x121, v11
	v_add_co_u32_e32 v5, vcc, s0, v5
	v_sub_u16_e32 v12, v12, v13
	v_addc_co_u32_e32 v6, vcc, v1, v6, vcc
	v_mul_lo_u32 v1, s18, v9
	v_mad_u64_u32 v[13:14], s[4:5], s16, v12, 0
	v_lshlrev_b64 v[7:8], 2, v[7:8]
	v_mov_b32_e32 v15, s1
	v_add_co_u32_e32 v16, vcc, s0, v7
	v_addc_co_u32_e32 v17, vcc, v15, v8, vcc
	v_lshlrev_b64 v[7:8], 2, v[1:2]
	v_mov_b32_e32 v1, v14
	v_mad_u64_u32 v[14:15], s[4:5], s17, v12, v[1:2]
	v_add_co_u32_e32 v7, vcc, v16, v7
	v_lshlrev_b64 v[15:16], 2, v[13:14]
	v_add_u16_e32 v14, 0x1dc, v0
	v_mul_u32_u24_e32 v13, 0xe3, v14
	v_lshrrev_b32_e32 v13, 16, v13
	v_addc_co_u32_e32 v8, vcc, v17, v8, vcc
	v_mul_lo_u16_e32 v17, 0x121, v13
	v_sub_u16_e32 v14, v14, v17
	v_mul_lo_u32 v1, s18, v11
	v_mad_u64_u32 v[17:18], s[4:5], s16, v14, 0
	v_mov_b32_e32 v19, s1
	v_add_co_u32_e32 v20, vcc, s0, v15
	v_addc_co_u32_e32 v21, vcc, v19, v16, vcc
	v_lshlrev_b64 v[15:16], 2, v[1:2]
	v_mov_b32_e32 v1, v18
	v_mad_u64_u32 v[18:19], s[4:5], s17, v14, v[1:2]
	v_add_co_u32_e32 v19, vcc, v20, v15
	v_addc_co_u32_e32 v20, vcc, v21, v16, vcc
	v_add_u16_e32 v16, 0x253, v0
	v_mul_u32_u24_e32 v15, 0xe3, v16
	v_lshrrev_b32_e32 v15, 16, v15
	v_mul_lo_u16_e32 v21, 0x121, v15
	v_sub_u16_e32 v16, v16, v21
	v_mul_lo_u32 v1, s18, v13
	v_mad_u64_u32 v[21:22], s[4:5], s16, v16, 0
	v_lshlrev_b64 v[17:18], 2, v[17:18]
	v_mov_b32_e32 v23, s1
	v_add_co_u32_e32 v24, vcc, s0, v17
	v_addc_co_u32_e32 v25, vcc, v23, v18, vcc
	v_lshlrev_b64 v[17:18], 2, v[1:2]
	v_mov_b32_e32 v1, v22
	v_mad_u64_u32 v[22:23], s[4:5], s17, v16, v[1:2]
	v_add_co_u32_e32 v23, vcc, v24, v17
	v_addc_co_u32_e32 v24, vcc, v25, v18, vcc
	v_add_u16_e32 v18, 0x2ca, v0
	v_mul_u32_u24_e32 v17, 0xe3, v18
	v_lshrrev_b32_e32 v17, 16, v17
	v_mul_lo_u16_e32 v25, 0x121, v17
	v_sub_u16_e32 v18, v18, v25
	v_mul_lo_u32 v1, s18, v15
	v_mad_u64_u32 v[25:26], s[4:5], s16, v18, 0
	v_lshlrev_b64 v[21:22], 2, v[21:22]
	v_mov_b32_e32 v27, s1
	v_add_co_u32_e32 v28, vcc, s0, v21
	v_addc_co_u32_e32 v29, vcc, v27, v22, vcc
	v_lshlrev_b64 v[21:22], 2, v[1:2]
	v_mov_b32_e32 v1, v26
	v_mad_u64_u32 v[26:27], s[4:5], s17, v18, v[1:2]
	v_add_u16_e32 v27, 0x341, v0
	v_add_co_u32_e32 v21, vcc, v28, v21
	v_mul_u32_u24_e32 v28, 0xe3, v27
	v_lshrrev_b32_e32 v46, 16, v28
	v_mul_lo_u16_e32 v28, 0x121, v46
	v_sub_u16_e32 v47, v27, v28
	v_mul_lo_u32 v1, s18, v17
	v_mad_u64_u32 v[27:28], s[4:5], s16, v47, 0
	v_lshlrev_b64 v[25:26], 2, v[25:26]
	v_addc_co_u32_e32 v22, vcc, v29, v22, vcc
	v_mov_b32_e32 v29, s1
	v_add_co_u32_e32 v30, vcc, s0, v25
	v_addc_co_u32_e32 v31, vcc, v29, v26, vcc
	v_lshlrev_b64 v[25:26], 2, v[1:2]
	v_mov_b32_e32 v1, v28
	v_mad_u64_u32 v[28:29], s[4:5], s17, v47, v[1:2]
	v_add_u16_e32 v29, 0x3b8, v0
	v_add_co_u32_e32 v25, vcc, v30, v25
	v_mul_u32_u24_e32 v30, 0x717, v29
	v_lshrrev_b32_e32 v48, 19, v30
	v_mul_lo_u16_e32 v30, 0x121, v48
	v_sub_u16_e32 v49, v29, v30
	v_mul_lo_u32 v1, s18, v46
	v_mad_u64_u32 v[29:30], s[4:5], s16, v49, 0
	v_lshlrev_b64 v[27:28], 2, v[27:28]
	v_addc_co_u32_e32 v26, vcc, v31, v26, vcc
	;; [unrolled: 16-line block ×8, first 2 shown]
	v_mov_b32_e32 v43, s1
	v_add_co_u32_e32 v44, vcc, s0, v39
	v_addc_co_u32_e32 v45, vcc, v43, v40, vcc
	v_lshlrev_b64 v[39:40], 2, v[1:2]
	v_mov_b32_e32 v1, v42
	v_mad_u64_u32 v[42:43], s[4:5], s17, v61, v[1:2]
	v_mul_lo_u32 v1, s18, v60
	v_add_co_u32_e32 v39, vcc, v44, v39
	v_lshlrev_b64 v[41:42], 2, v[41:42]
	v_addc_co_u32_e32 v40, vcc, v45, v40, vcc
	v_mov_b32_e32 v45, s1
	v_add_co_u32_e32 v64, vcc, s0, v41
	v_addc_co_u32_e32 v65, vcc, v45, v42, vcc
	v_lshlrev_b64 v[41:42], 2, v[1:2]
	v_add_u16_e32 v43, 0x6f9, v0
	v_add_co_u32_e32 v41, vcc, v64, v41
	global_load_dword v64, v[3:4], off
	v_mul_u32_u24_e32 v44, 0x717, v43
	v_addc_co_u32_e32 v42, vcc, v65, v42, vcc
	global_load_dword v65, v[5:6], off
	global_load_dword v67, v[7:8], off
	v_lshrrev_b32_e32 v62, 19, v44
	global_load_dword v20, v[19:20], off
	v_mul_lo_u16_e32 v44, 0x121, v62
	v_sub_u16_e32 v63, v43, v44
	v_mad_u64_u32 v[43:44], s[4:5], s16, v63, 0
	v_add_u16_e32 v3, 0x770, v0
	v_mul_u32_u24_e32 v4, 0x717, v3
	v_lshrrev_b32_e32 v66, 19, v4
	v_mul_lo_u16_e32 v4, 0x121, v66
	global_load_dword v69, v[23:24], off
	global_load_dword v70, v[21:22], off
	v_mov_b32_e32 v1, v44
	v_sub_u16_e32 v68, v3, v4
	v_mad_u64_u32 v[44:45], s[4:5], s17, v63, v[1:2]
	v_mul_lo_u32 v1, s18, v62
	v_mad_u64_u32 v[3:4], s[4:5], s16, v68, 0
	global_load_dword v22, v[25:26], off
	global_load_dword v23, v[27:28], off
	v_lshlrev_b64 v[5:6], 2, v[1:2]
	v_mov_b32_e32 v1, v4
	v_mad_u64_u32 v[7:8], s[4:5], s17, v68, v[1:2]
	v_lshlrev_b64 v[43:44], 2, v[43:44]
	global_load_dword v8, v[29:30], off
	global_load_dword v24, v[31:32], off
	v_mov_b32_e32 v45, s1
	v_add_co_u32_e32 v19, vcc, s0, v43
	v_addc_co_u32_e32 v21, vcc, v45, v44, vcc
	v_mov_b32_e32 v4, v7
	global_load_dword v7, v[33:34], off
	v_add_co_u32_e32 v5, vcc, v19, v5
	v_addc_co_u32_e32 v6, vcc, v21, v6, vcc
	global_load_dword v21, v[35:36], off
	v_mul_lo_u32 v1, s18, v66
	v_lshlrev_b64 v[3:4], 2, v[3:4]
	global_load_dword v25, v[37:38], off
	global_load_dword v26, v[39:40], off
	v_mov_b32_e32 v19, s1
	v_add_co_u32_e32 v27, vcc, s0, v3
	v_addc_co_u32_e32 v19, vcc, v19, v4, vcc
	v_lshlrev_b64 v[3:4], 2, v[1:2]
	global_load_dword v28, v[41:42], off
	global_load_dword v29, v[5:6], off
	v_add_co_u32_e32 v3, vcc, v27, v3
	v_addc_co_u32_e32 v4, vcc, v19, v4, vcc
	global_load_dword v3, v[3:4], off
	v_mul_lo_u16_e32 v4, 7, v0
	v_lshl_add_u32 v4, v4, 2, 0
	s_load_dwordx4 s[4:7], s[14:15], 0x0
	s_load_dword s0, s[14:15], 0x10
	v_mul_u32_u24_e32 v19, 0x2493, v0
	v_mov_b32_e32 v1, 7
	v_mul_lo_u16_sdwa v1, v19, v1 dst_sel:DWORD dst_unused:UNUSED_PAD src0_sel:WORD_1 src1_sel:DWORD
	v_sub_u16_e32 v1, v0, v1
	s_waitcnt lgkmcnt(0)
	s_movk_i32 s7, 0x3b76
	s_movk_i32 s1, 0x39e9
	;; [unrolled: 1-line block ×4, first 2 shown]
	s_mov_b32 s15, 0xb461
	s_mov_b32 s17, 0xb8d2
	;; [unrolled: 1-line block ×3, first 2 shown]
	s_movk_i32 s12, 0x1dc
	s_mul_i32 s10, s10, s20
	s_waitcnt vmcnt(16)
	ds_write_b32 v4, v64
	v_mov_b32_e32 v4, 0x341
	v_mad_legacy_u16 v4, v0, 7, v4
	v_lshl_add_u32 v4, v4, 2, 0
	s_waitcnt vmcnt(15)
	ds_write_b32 v4, v65
	v_mad_legacy_u16 v4, v10, 7, v9
	v_lshl_add_u32 v4, v4, 2, 0
	s_waitcnt vmcnt(14)
	ds_write_b32 v4, v67
	;; [unrolled: 4-line block ×3, first 2 shown]
	v_mad_legacy_u16 v4, v14, 7, v13
	v_lshl_add_u32 v4, v4, 2, 0
	v_lshlrev_b32_e32 v20, 2, v1
	v_add_co_u32_e32 v1, vcc, s19, v1
	s_waitcnt vmcnt(12)
	ds_write_b32 v4, v69
	v_mad_legacy_u16 v4, v16, 7, v15
	v_lshl_add_u32 v4, v4, 2, 0
	s_waitcnt vmcnt(11)
	ds_write_b32 v4, v70
	v_mad_legacy_u16 v4, v18, 7, v17
	v_lshl_add_u32 v4, v4, 2, 0
	v_mul_u32_u24_e32 v0, 0x227, v0
	s_waitcnt vmcnt(10)
	ds_write_b32 v4, v22
	v_mad_legacy_u16 v4, v47, 7, v46
	v_lshl_add_u32 v4, v4, 2, 0
	s_waitcnt vmcnt(9)
	ds_write_b32 v4, v23
	v_mad_legacy_u16 v4, v49, 7, v48
	v_lshl_add_u32 v4, v4, 2, 0
	;; [unrolled: 4-line block ×10, first 2 shown]
	s_waitcnt vmcnt(0)
	ds_write_b32 v4, v3
	v_mov_b32_e32 v3, 28
	v_mul_u32_u24_sdwa v3, v19, v3 dst_sel:DWORD dst_unused:UNUSED_PAD src0_sel:WORD_1 src1_sel:DWORD
	v_add3_u32 v11, 0, v3, v20
	s_waitcnt lgkmcnt(0)
	s_barrier
	ds_read2_b32 v[5:6], v11 offset1:119
	v_add_u32_e32 v12, 0x200, v11
	ds_read2_b32 v[29:30], v12 offset0:110 offset1:229
	v_add_u32_e32 v15, 0x600, v11
	ds_read2_b32 v[38:39], v15 offset0:92 offset1:211
	v_add_u32_e32 v16, 0xa00, v11
	ds_read2_b32 v[7:8], v16 offset0:74 offset1:193
	s_waitcnt lgkmcnt(3)
	v_add_f16_e32 v22, v6, v5
	v_add_f16_sdwa v23, v6, v5 dst_sel:DWORD dst_unused:UNUSED_PAD src0_sel:WORD_1 src1_sel:WORD_1
	v_add_u32_e32 v13, 0xe00, v11
	s_waitcnt lgkmcnt(2)
	v_add_f16_e32 v22, v22, v29
	v_add_f16_sdwa v23, v23, v29 dst_sel:DWORD dst_unused:UNUSED_PAD src0_sel:DWORD src1_sel:WORD_1
	ds_read2_b32 v[3:4], v13 offset0:56 offset1:175
	v_add_f16_e32 v22, v22, v30
	v_add_f16_sdwa v23, v23, v30 dst_sel:DWORD dst_unused:UNUSED_PAD src0_sel:DWORD src1_sel:WORD_1
	v_add_u32_e32 v17, 0x1200, v11
	s_waitcnt lgkmcnt(2)
	v_add_f16_e32 v22, v22, v38
	v_add_f16_sdwa v23, v23, v38 dst_sel:DWORD dst_unused:UNUSED_PAD src0_sel:DWORD src1_sel:WORD_1
	ds_read2_b32 v[9:10], v17 offset0:38 offset1:157
	v_add_f16_e32 v22, v22, v39
	v_add_f16_sdwa v23, v23, v39 dst_sel:DWORD dst_unused:UNUSED_PAD src0_sel:DWORD src1_sel:WORD_1
	v_add_u32_e32 v18, 0x1600, v11
	s_waitcnt lgkmcnt(2)
	v_add_f16_e32 v22, v22, v7
	v_add_f16_sdwa v23, v23, v7 dst_sel:DWORD dst_unused:UNUSED_PAD src0_sel:DWORD src1_sel:WORD_1
	ds_read2_b32 v[45:46], v18 offset0:20 offset1:139
	v_add_u32_e32 v14, 0x1800, v11
	v_add_f16_e32 v22, v22, v8
	v_add_f16_sdwa v23, v23, v8 dst_sel:DWORD dst_unused:UNUSED_PAD src0_sel:DWORD src1_sel:WORD_1
	ds_read2_b32 v[33:34], v14 offset0:130 offset1:249
	ds_read_b32 v21, v11 offset:7616
	s_waitcnt lgkmcnt(4)
	v_add_f16_e32 v22, v22, v3
	v_add_f16_sdwa v23, v23, v3 dst_sel:DWORD dst_unused:UNUSED_PAD src0_sel:DWORD src1_sel:WORD_1
	v_add_f16_e32 v22, v22, v4
	v_add_f16_sdwa v23, v23, v4 dst_sel:DWORD dst_unused:UNUSED_PAD src0_sel:DWORD src1_sel:WORD_1
	s_waitcnt lgkmcnt(3)
	v_add_f16_e32 v22, v22, v9
	v_add_f16_sdwa v23, v23, v9 dst_sel:DWORD dst_unused:UNUSED_PAD src0_sel:DWORD src1_sel:WORD_1
	v_add_f16_e32 v22, v22, v10
	v_add_f16_sdwa v23, v23, v10 dst_sel:DWORD dst_unused:UNUSED_PAD src0_sel:DWORD src1_sel:WORD_1
	;; [unrolled: 5-line block ×3, first 2 shown]
	s_waitcnt lgkmcnt(0)
	v_sub_f16_sdwa v43, v6, v21 dst_sel:DWORD dst_unused:UNUSED_PAD src0_sel:WORD_1 src1_sel:WORD_1
	v_add_f16_e32 v22, v22, v33
	v_add_f16_sdwa v23, v23, v33 dst_sel:DWORD dst_unused:UNUSED_PAD src0_sel:DWORD src1_sel:WORD_1
	v_add_f16_e32 v42, v21, v6
	v_mul_f16_e32 v24, 0xb5c8, v43
	v_mul_f16_e32 v44, 0xb964, v43
	;; [unrolled: 1-line block ×8, first 2 shown]
	v_add_f16_e32 v22, v22, v34
	v_add_f16_sdwa v23, v23, v34 dst_sel:DWORD dst_unused:UNUSED_PAD src0_sel:DWORD src1_sel:WORD_1
	v_fma_f16 v40, v42, s7, -v24
	v_fma_f16 v41, v42, s7, v24
	v_add_f16_e32 v25, v34, v29
	v_add_f16_sdwa v24, v34, v29 dst_sel:DWORD dst_unused:UNUSED_PAD src0_sel:WORD_1 src1_sel:WORD_1
	v_sub_f16_e32 v28, v29, v34
	v_sub_f16_sdwa v31, v29, v34 dst_sel:DWORD dst_unused:UNUSED_PAD src0_sel:WORD_1 src1_sel:WORD_1
	v_add_f16_e32 v27, v33, v30
	v_add_f16_sdwa v26, v33, v30 dst_sel:DWORD dst_unused:UNUSED_PAD src0_sel:WORD_1 src1_sel:WORD_1
	v_sub_f16_e32 v32, v30, v33
	v_sub_f16_sdwa v35, v30, v33 dst_sel:DWORD dst_unused:UNUSED_PAD src0_sel:WORD_1 src1_sel:WORD_1
	;; [unrolled: 4-line block ×6, first 2 shown]
	v_fma_f16 v9, v42, s1, -v44
	v_fma_f16 v44, v42, s1, v44
	v_fma_f16 v51, v42, s16, -v50
	v_fma_f16 v50, v42, s16, v50
	;; [unrolled: 2-line block ×7, first 2 shown]
	v_add_f16_sdwa v43, v21, v6 dst_sel:DWORD dst_unused:UNUSED_PAD src0_sel:WORD_1 src1_sel:WORD_1
	v_sub_f16_e32 v6, v6, v21
	v_mul_f16_e32 v61, 0xb5c8, v6
	v_mul_f16_e32 v63, 0xb964, v6
	;; [unrolled: 1-line block ×8, first 2 shown]
	v_fma_f16 v62, v43, s7, v61
	v_fma_f16 v61, v43, s7, -v61
	v_fma_f16 v64, v43, s1, v63
	v_fma_f16 v63, v43, s1, -v63
	;; [unrolled: 2-line block ×8, first 2 shown]
	v_add_f16_e32 v40, v40, v5
	v_add_f16_sdwa v43, v62, v5 dst_sel:DWORD dst_unused:UNUSED_PAD src0_sel:DWORD src1_sel:WORD_1
	v_add_f16_e32 v41, v41, v5
	v_add_f16_sdwa v61, v61, v5 dst_sel:DWORD dst_unused:UNUSED_PAD src0_sel:DWORD src1_sel:WORD_1
	;; [unrolled: 2-line block ×16, first 2 shown]
	v_add_f16_e32 v5, v22, v21
	v_add_f16_sdwa v21, v23, v21 dst_sel:WORD_1 dst_unused:UNUSED_PAD src0_sel:DWORD src1_sel:WORD_1
	v_or_b32_e32 v5, v21, v5
	v_mul_f16_e32 v21, 0xb964, v31
	v_fma_f16 v22, v25, s1, -v21
	v_mul_f16_e32 v23, 0xb964, v28
	v_fma_f16 v21, v25, s1, v21
	v_add_f16_e32 v22, v22, v40
	v_fma_f16 v40, v24, s1, v23
	v_add_f16_e32 v21, v21, v41
	v_mul_f16_e32 v41, 0xbbf7, v31
	v_add_f16_e32 v40, v40, v43
	v_fma_f16 v43, v25, s14, -v41
	v_fma_f16 v23, v24, s1, -v23
	v_add_f16_e32 v9, v43, v9
	v_mul_f16_e32 v43, 0xbbf7, v28
	v_fma_f16 v41, v25, s14, v41
	v_add_f16_e32 v23, v23, v61
	v_fma_f16 v61, v24, s14, v43
	v_add_f16_e32 v41, v41, v44
	v_mul_f16_e32 v44, 0xba62, v31
	v_add_f16_e32 v61, v61, v62
	v_fma_f16 v62, v25, s17, -v44
	v_fma_f16 v43, v24, s14, -v43
	v_add_f16_e32 v51, v62, v51
	v_mul_f16_e32 v62, 0xba62, v28
	v_fma_f16 v44, v25, s17, v44
	v_add_f16_e32 v43, v43, v63
	v_fma_f16 v63, v24, s17, v62
	v_add_f16_e32 v44, v44, v50
	v_fma_f16 v50, v24, s17, -v62
	v_mul_f16_e32 v62, 0xb1e1, v31
	v_add_f16_e32 v63, v63, v64
	v_fma_f16 v64, v25, s22, -v62
	v_add_f16_e32 v53, v64, v53
	v_mul_f16_e32 v64, 0xb1e1, v28
	v_fma_f16 v62, v25, s22, v62
	v_add_f16_e32 v50, v50, v65
	v_fma_f16 v65, v24, s22, v64
	v_add_f16_e32 v52, v62, v52
	v_fma_f16 v62, v24, s22, -v64
	v_mul_f16_e32 v64, 0x3836, v31
	v_add_f16_e32 v65, v65, v66
	;; [unrolled: 10-line block ×4, first 2 shown]
	v_fma_f16 v70, v25, s16, -v68
	v_add_f16_e32 v59, v70, v59
	v_mul_f16_e32 v70, 0x3b29, v28
	v_fma_f16 v68, v25, s16, v68
	v_mul_f16_e32 v31, 0x35c8, v31
	v_add_f16_e32 v66, v66, v71
	v_fma_f16 v71, v24, s16, v70
	v_add_f16_e32 v58, v68, v58
	v_fma_f16 v68, v24, s16, -v70
	v_fma_f16 v70, v25, s7, -v31
	v_mul_f16_e32 v28, 0x35c8, v28
	v_add_f16_e32 v60, v70, v60
	v_fma_f16 v70, v24, s7, v28
	v_fma_f16 v24, v24, s7, -v28
	v_add_f16_e32 v6, v24, v6
	v_mul_f16_e32 v24, 0xbb29, v35
	v_fma_f16 v28, v27, s16, -v24
	v_add_f16_e32 v22, v28, v22
	v_mul_f16_e32 v28, 0xbb29, v32
	v_fma_f16 v24, v27, s16, v24
	v_add_f16_e32 v21, v24, v21
	v_fma_f16 v24, v26, s16, -v28
	v_add_f16_e32 v23, v24, v23
	v_mul_f16_e32 v24, 0xba62, v35
	v_fma_f16 v25, v25, s7, v31
	v_fma_f16 v31, v26, s16, v28
	v_fma_f16 v28, v27, s17, -v24
	v_add_f16_e32 v9, v28, v9
	v_mul_f16_e32 v28, 0xba62, v32
	v_fma_f16 v24, v27, s17, v24
	v_add_f16_e32 v31, v31, v40
	v_fma_f16 v40, v26, s17, v28
	v_add_f16_e32 v24, v24, v41
	v_fma_f16 v28, v26, s17, -v28
	v_mul_f16_e32 v41, 0x31e1, v35
	v_add_f16_e32 v25, v25, v42
	v_add_f16_e32 v28, v28, v43
	v_fma_f16 v42, v27, s22, -v41
	v_mul_f16_e32 v43, 0x31e1, v32
	v_fma_f16 v41, v27, s22, v41
	v_add_f16_e32 v42, v42, v51
	v_fma_f16 v51, v26, s22, v43
	v_add_f16_e32 v41, v41, v44
	v_fma_f16 v43, v26, s22, -v43
	v_mul_f16_e32 v44, 0x3bb2, v35
	v_add_f16_e32 v43, v43, v50
	v_fma_f16 v50, v27, s15, -v44
	v_add_f16_e32 v50, v50, v53
	v_mul_f16_e32 v53, 0x3bb2, v32
	v_fma_f16 v44, v27, s15, v44
	v_add_f16_e32 v40, v40, v61
	v_fma_f16 v61, v26, s15, v53
	v_add_f16_e32 v44, v44, v52
	v_fma_f16 v52, v26, s15, -v53
	v_mul_f16_e32 v53, 0x3964, v35
	v_add_f16_e32 v52, v52, v62
	v_fma_f16 v62, v27, s1, -v53
	v_add_f16_e32 v55, v62, v55
	;; [unrolled: 10-line block ×4, first 2 shown]
	v_mul_f16_e32 v66, 0xbbf7, v32
	v_fma_f16 v64, v27, s14, v64
	v_mul_f16_e32 v35, 0xb836, v35
	v_add_f16_e32 v63, v63, v67
	v_fma_f16 v67, v26, s14, v66
	v_add_f16_e32 v58, v64, v58
	v_fma_f16 v64, v26, s14, -v66
	v_fma_f16 v66, v27, s18, -v35
	v_mul_f16_e32 v32, 0xb836, v32
	v_add_f16_e32 v60, v66, v60
	v_fma_f16 v66, v26, s18, v32
	v_fma_f16 v26, v26, s18, -v32
	v_fma_f16 v27, v27, s18, v35
	v_add_f16_e32 v6, v26, v6
	v_mul_f16_e32 v26, 0xbbf7, v37
	v_add_f16_e32 v25, v27, v25
	v_fma_f16 v27, v30, s14, -v26
	v_add_f16_e32 v22, v27, v22
	v_mul_f16_e32 v27, 0xbbf7, v36
	v_fma_f16 v26, v30, s14, v26
	v_add_f16_e32 v21, v26, v21
	v_fma_f16 v26, v29, s14, -v27
	v_add_f16_e32 v23, v26, v23
	v_mul_f16_e32 v26, 0xb1e1, v37
	v_fma_f16 v32, v29, s14, v27
	v_fma_f16 v27, v30, s22, -v26
	v_add_f16_e32 v9, v27, v9
	v_mul_f16_e32 v27, 0xb1e1, v36
	v_fma_f16 v26, v30, s22, v26
	v_add_f16_e32 v31, v32, v31
	v_fma_f16 v32, v29, s22, v27
	v_add_f16_e32 v24, v26, v24
	v_fma_f16 v26, v29, s22, -v27
	v_mul_f16_e32 v27, 0x3bb2, v37
	v_add_f16_e32 v26, v26, v28
	v_fma_f16 v28, v30, s15, -v27
	v_mul_f16_e32 v35, 0x3bb2, v36
	v_fma_f16 v27, v30, s15, v27
	v_add_f16_e32 v32, v32, v40
	v_fma_f16 v40, v29, s15, v35
	v_add_f16_e32 v27, v27, v41
	v_fma_f16 v35, v29, s15, -v35
	v_mul_f16_e32 v41, 0x35c8, v37
	v_add_f16_e32 v28, v28, v42
	v_add_f16_e32 v35, v35, v43
	v_fma_f16 v42, v30, s7, -v41
	v_mul_f16_e32 v43, 0x35c8, v36
	v_fma_f16 v41, v30, s7, v41
	v_add_f16_e32 v42, v42, v50
	v_fma_f16 v50, v29, s7, v43
	v_add_f16_e32 v41, v41, v44
	v_fma_f16 v43, v29, s7, -v43
	v_mul_f16_e32 v44, 0xbb29, v37
	v_add_f16_e32 v40, v40, v51
	;; [unrolled: 10-line block ×3, first 2 shown]
	v_fma_f16 v54, v30, s18, -v53
	v_add_f16_e32 v54, v54, v57
	v_mul_f16_e32 v57, 0xb836, v36
	v_fma_f16 v53, v30, s18, v53
	v_add_f16_e32 v50, v50, v61
	v_fma_f16 v61, v29, s18, v57
	v_add_f16_e32 v53, v53, v56
	v_fma_f16 v56, v29, s18, -v57
	v_mul_f16_e32 v57, 0x3a62, v37
	v_add_f16_e32 v56, v56, v62
	v_fma_f16 v62, v30, s17, -v57
	v_add_f16_e32 v59, v62, v59
	v_mul_f16_e32 v62, 0x3a62, v36
	v_fma_f16 v57, v30, s17, v57
	v_mul_f16_e32 v37, 0x3964, v37
	v_add_f16_e32 v55, v55, v63
	v_fma_f16 v63, v29, s17, v62
	v_add_f16_e32 v57, v57, v58
	v_fma_f16 v58, v29, s17, -v62
	v_fma_f16 v62, v30, s1, -v37
	v_mul_f16_e32 v36, 0x3964, v36
	v_add_f16_e32 v60, v62, v60
	v_fma_f16 v62, v29, s1, v36
	v_fma_f16 v29, v29, s1, -v36
	v_fma_f16 v30, v30, s1, v37
	v_add_f16_e32 v6, v29, v6
	v_mul_f16_e32 v29, 0xbbb2, v39
	v_add_f16_e32 v25, v30, v25
	v_fma_f16 v30, v34, s15, -v29
	v_add_f16_e32 v22, v30, v22
	v_mul_f16_e32 v30, 0xbbb2, v38
	v_fma_f16 v29, v34, s15, v29
	v_add_f16_e32 v21, v29, v21
	v_fma_f16 v29, v33, s15, -v30
	v_add_f16_e32 v23, v29, v23
	v_mul_f16_e32 v29, 0x3836, v39
	v_fma_f16 v36, v33, s15, v30
	v_fma_f16 v30, v34, s18, -v29
	v_add_f16_e32 v9, v30, v9
	v_mul_f16_e32 v30, 0x3836, v38
	v_fma_f16 v29, v34, s18, v29
	v_add_f16_e32 v24, v29, v24
	v_fma_f16 v29, v33, s18, -v30
	v_add_f16_e32 v26, v29, v26
	v_mul_f16_e32 v29, 0x3964, v39
	v_add_f16_e32 v31, v36, v31
	v_fma_f16 v36, v33, s18, v30
	v_fma_f16 v30, v34, s1, -v29
	v_add_f16_e32 v28, v30, v28
	v_mul_f16_e32 v30, 0x3964, v38
	v_fma_f16 v29, v34, s1, v29
	v_add_f16_e32 v32, v36, v32
	v_fma_f16 v36, v33, s1, v30
	v_add_f16_e32 v27, v29, v27
	v_fma_f16 v29, v33, s1, -v30
	v_mul_f16_e32 v30, 0xbb29, v39
	v_add_f16_e32 v29, v29, v35
	v_fma_f16 v35, v34, s16, -v30
	v_mul_f16_e32 v37, 0xbb29, v38
	v_fma_f16 v30, v34, s16, v30
	v_add_f16_e32 v36, v36, v40
	v_fma_f16 v40, v33, s16, v37
	v_add_f16_e32 v30, v30, v41
	v_fma_f16 v37, v33, s16, -v37
	v_mul_f16_e32 v41, 0xb1e1, v39
	v_add_f16_e32 v35, v35, v42
	v_add_f16_e32 v37, v37, v43
	v_fma_f16 v42, v34, s22, -v41
	v_mul_f16_e32 v43, 0xb1e1, v38
	v_fma_f16 v41, v34, s22, v41
	v_add_f16_e32 v40, v40, v50
	v_fma_f16 v50, v33, s22, v43
	v_add_f16_e32 v41, v41, v44
	v_fma_f16 v43, v33, s22, -v43
	v_mul_f16_e32 v44, 0x3bf7, v39
	v_add_f16_e32 v42, v42, v51
	v_add_f16_e32 v43, v43, v52
	v_fma_f16 v51, v34, s14, -v44
	v_mul_f16_e32 v52, 0x3bf7, v38
	v_fma_f16 v44, v34, s14, v44
	v_add_f16_e32 v68, v68, v73
	v_add_f16_e32 v51, v51, v54
	v_fma_f16 v54, v33, s14, v52
	v_add_f16_e32 v44, v44, v53
	v_fma_f16 v52, v33, s14, -v52
	v_mul_f16_e32 v53, 0xb5c8, v39
	v_add_f16_e32 v64, v64, v68
	v_add_f16_e32 v50, v50, v55
	;; [unrolled: 1-line block ×3, first 2 shown]
	v_fma_f16 v55, v34, s7, -v53
	v_mul_f16_e32 v56, 0xb5c8, v38
	v_add_f16_e32 v58, v58, v64
	v_add_f16_e32 v55, v55, v59
	v_fma_f16 v59, v33, s7, v56
	v_fma_f16 v56, v33, s7, -v56
	v_mul_f16_e32 v38, 0xba62, v38
	v_fma_f16 v53, v34, s7, v53
	v_add_f16_e32 v56, v56, v58
	v_mul_f16_e32 v39, 0xba62, v39
	v_fma_f16 v58, v33, s17, v38
	v_fma_f16 v33, v33, s17, -v38
	v_add_f16_e32 v53, v53, v57
	v_fma_f16 v57, v34, s17, -v39
	v_fma_f16 v34, v34, s17, v39
	v_add_f16_e32 v6, v33, v6
	v_mul_f16_e32 v33, 0xba62, v49
	v_add_f16_e32 v25, v34, v25
	v_fma_f16 v34, v47, s17, -v33
	v_add_f16_e32 v22, v34, v22
	v_mul_f16_e32 v34, 0xba62, v48
	v_fma_f16 v33, v47, s17, v33
	v_add_f16_e32 v21, v33, v21
	v_fma_f16 v33, v46, s17, -v34
	v_add_f16_e32 v23, v33, v23
	v_mul_f16_e32 v33, 0x3bb2, v49
	v_fma_f16 v38, v46, s17, v34
	v_fma_f16 v34, v47, s15, -v33
	v_add_f16_e32 v9, v34, v9
	v_mul_f16_e32 v34, 0x3bb2, v48
	v_fma_f16 v33, v47, s15, v33
	v_add_f16_e32 v24, v33, v24
	v_fma_f16 v33, v46, s15, -v34
	v_add_f16_e32 v26, v33, v26
	v_mul_f16_e32 v33, 0xb5c8, v49
	v_add_f16_e32 v31, v38, v31
	v_fma_f16 v38, v46, s15, v34
	v_fma_f16 v34, v47, s7, -v33
	v_add_f16_e32 v28, v34, v28
	v_mul_f16_e32 v34, 0xb5c8, v48
	v_fma_f16 v33, v47, s7, v33
	v_add_f16_e32 v27, v33, v27
	v_fma_f16 v33, v46, s7, -v34
	v_add_f16_e32 v29, v33, v29
	v_mul_f16_e32 v33, 0xb836, v49
	v_add_f16_e32 v32, v38, v32
	v_fma_f16 v38, v46, s7, v34
	v_fma_f16 v34, v47, s18, -v33
	v_add_f16_e32 v34, v34, v35
	v_mul_f16_e32 v35, 0xb836, v48
	v_fma_f16 v33, v47, s18, v33
	v_add_f16_e32 v36, v38, v36
	v_fma_f16 v38, v46, s18, v35
	v_add_f16_e32 v30, v33, v30
	v_fma_f16 v33, v46, s18, -v35
	v_mul_f16_e32 v35, 0x3bf7, v49
	v_add_f16_e32 v33, v33, v37
	v_fma_f16 v37, v47, s14, -v35
	v_mul_f16_e32 v39, 0x3bf7, v48
	v_fma_f16 v35, v47, s14, v35
	v_add_f16_e32 v38, v38, v40
	v_fma_f16 v40, v46, s14, v39
	v_add_f16_e32 v35, v35, v41
	v_fma_f16 v39, v46, s14, -v39
	v_mul_f16_e32 v41, 0xb964, v49
	v_add_f16_e32 v65, v65, v69
	v_add_f16_e32 v37, v37, v42
	;; [unrolled: 1-line block ×3, first 2 shown]
	v_fma_f16 v42, v47, s1, -v41
	v_mul_f16_e32 v43, 0xb964, v48
	v_fma_f16 v41, v47, s1, v41
	v_add_f16_e32 v61, v61, v65
	v_add_f16_e32 v40, v40, v50
	v_fma_f16 v50, v46, s1, v43
	v_add_f16_e32 v41, v41, v44
	v_fma_f16 v43, v46, s1, -v43
	v_mul_f16_e32 v44, 0xb1e1, v49
	v_add_f16_e32 v54, v54, v61
	v_add_f16_e32 v42, v42, v51
	;; [unrolled: 1-line block ×3, first 2 shown]
	v_fma_f16 v51, v47, s22, -v44
	v_mul_f16_e32 v52, 0xb1e1, v48
	v_mul_f16_e32 v48, 0x3b29, v48
	v_add_f16_e32 v50, v50, v54
	v_add_f16_e32 v51, v51, v55
	v_fma_f16 v54, v46, s22, v52
	v_fma_f16 v44, v47, s22, v44
	v_fma_f16 v52, v46, s22, -v52
	v_mul_f16_e32 v49, 0x3b29, v49
	v_fma_f16 v55, v46, s16, v48
	v_fma_f16 v46, v46, s16, -v48
	v_add_f16_e32 v44, v44, v53
	v_fma_f16 v53, v47, s16, -v49
	v_fma_f16 v47, v47, s16, v49
	v_add_f16_e32 v6, v46, v6
	v_mul_f16_e32 v46, 0xb836, v8
	v_add_f16_e32 v25, v47, v25
	v_fma_f16 v47, v10, s18, -v46
	v_add_f16_e32 v22, v47, v22
	v_mul_f16_e32 v47, 0xb836, v45
	v_fma_f16 v46, v10, s18, v46
	v_add_f16_e32 v21, v46, v21
	v_fma_f16 v46, v7, s18, -v47
	v_add_f16_e32 v23, v46, v23
	v_mul_f16_e32 v46, 0x3b29, v8
	v_fma_f16 v48, v7, s18, v47
	v_fma_f16 v47, v10, s16, -v46
	v_add_f16_e32 v9, v47, v9
	v_mul_f16_e32 v47, 0x3b29, v45
	v_fma_f16 v46, v10, s16, v46
	v_add_f16_e32 v24, v46, v24
	v_fma_f16 v46, v7, s16, -v47
	v_add_f16_e32 v26, v46, v26
	v_mul_f16_e32 v46, 0xbbf7, v8
	v_add_f16_e32 v31, v48, v31
	v_fma_f16 v48, v7, s16, v47
	v_fma_f16 v47, v10, s14, -v46
	v_add_f16_e32 v28, v47, v28
	v_mul_f16_e32 v47, 0xbbf7, v45
	v_fma_f16 v46, v10, s14, v46
	v_add_f16_e32 v27, v46, v27
	v_fma_f16 v46, v7, s14, -v47
	v_add_f16_e32 v29, v46, v29
	v_mul_f16_e32 v46, 0x3a62, v8
	v_add_f16_e32 v32, v48, v32
	;; [unrolled: 10-line block ×4, first 2 shown]
	v_fma_f16 v48, v7, s7, v47
	v_fma_f16 v47, v10, s22, -v46
	v_add_f16_e32 v71, v71, v72
	v_add_f16_e32 v70, v70, v74
	;; [unrolled: 1-line block ×3, first 2 shown]
	v_mul_f16_e32 v47, 0xb1e1, v45
	v_fma_f16 v46, v10, s22, v46
	v_add_f16_e32 v67, v67, v71
	v_add_f16_e32 v66, v66, v70
	;; [unrolled: 1-line block ×3, first 2 shown]
	v_fma_f16 v46, v7, s22, -v47
	v_add_f16_e32 v63, v63, v67
	v_add_f16_e32 v62, v62, v66
	;; [unrolled: 1-line block ×3, first 2 shown]
	v_mul_f16_e32 v46, 0x3964, v8
	v_add_f16_e32 v59, v59, v63
	v_add_f16_e32 v57, v57, v60
	;; [unrolled: 1-line block ×4, first 2 shown]
	v_fma_f16 v48, v7, s22, v47
	v_fma_f16 v47, v10, s1, -v46
	v_mul_f16_e32 v49, 0x3964, v45
	v_fma_f16 v46, v10, s1, v46
	v_mul_f16_e32 v8, 0xbbb2, v8
	v_mul_f16_e32 v45, 0xbbb2, v45
	v_add_f16_e32 v54, v54, v59
	v_add_f16_e32 v52, v52, v56
	;; [unrolled: 1-line block ×6, first 2 shown]
	v_fma_f16 v50, v7, s1, v49
	v_add_f16_e32 v44, v46, v44
	v_fma_f16 v46, v7, s1, -v49
	v_fma_f16 v49, v10, s15, -v8
	v_fma_f16 v51, v7, s15, v45
	v_sub_f16_sdwa v56, v3, v4 dst_sel:DWORD dst_unused:UNUSED_PAD src0_sel:WORD_1 src1_sel:WORD_1
	v_add_f16_e32 v50, v50, v54
	v_add_f16_e32 v49, v49, v53
	;; [unrolled: 1-line block ×4, first 2 shown]
	v_add_f16_sdwa v54, v4, v3 dst_sel:DWORD dst_unused:UNUSED_PAD src0_sel:WORD_1 src1_sel:WORD_1
	v_sub_f16_e32 v55, v3, v4
	v_mul_f16_e32 v3, 0xb1e1, v56
	v_fma_f16 v4, v53, s22, -v3
	v_fma_f16 v7, v7, s15, -v45
	v_add_f16_e32 v57, v4, v22
	v_mul_f16_e32 v4, 0xb1e1, v55
	v_add_f16_e32 v45, v7, v6
	v_fma_f16 v6, v54, s22, v4
	v_add_f16_e32 v31, v6, v31
	v_mul_f16_e32 v6, 0x35c8, v56
	v_fma_f16 v7, v53, s7, -v6
	v_fma_f16 v8, v10, s15, v8
	v_add_f16_e32 v58, v7, v9
	v_mul_f16_e32 v7, 0x35c8, v55
	v_add_f16_e32 v46, v46, v52
	v_add_f16_e32 v52, v8, v25
	v_fma_f16 v8, v54, s7, v7
	v_add_f16_e32 v32, v8, v32
	v_mul_f16_e32 v8, 0xb836, v56
	v_fma_f16 v9, v53, s18, -v8
	v_add_f16_e32 v28, v9, v28
	v_mul_f16_e32 v9, 0xb836, v55
	v_fma_f16 v10, v54, s18, v9
	v_fma_f16 v3, v53, s22, v3
	v_add_f16_e32 v36, v10, v36
	v_mul_f16_e32 v10, 0x3964, v56
	v_add_f16_e32 v3, v3, v21
	v_fma_f16 v9, v54, s18, -v9
	v_fma_f16 v21, v53, s1, -v10
	v_add_f16_e32 v9, v9, v29
	v_add_f16_e32 v29, v21, v34
	v_mul_f16_e32 v21, 0x3964, v55
	v_fma_f16 v22, v54, s1, v21
	v_fma_f16 v4, v54, s22, -v4
	v_add_f16_e32 v34, v22, v38
	v_mul_f16_e32 v22, 0xba62, v56
	v_add_f16_e32 v4, v4, v23
	v_fma_f16 v10, v53, s1, v10
	v_fma_f16 v23, v53, s17, -v22
	v_fma_f16 v6, v53, s7, v6
	v_add_f16_e32 v10, v10, v30
	v_add_f16_e32 v30, v23, v37
	v_mul_f16_e32 v23, 0xba62, v55
	v_add_f16_e32 v6, v6, v24
	v_fma_f16 v21, v54, s1, -v21
	v_fma_f16 v24, v54, s17, v23
	v_add_f16_e32 v21, v21, v33
	v_add_f16_e32 v33, v24, v40
	v_mul_f16_e32 v24, 0x3b29, v56
	v_fma_f16 v22, v53, s17, v22
	v_fma_f16 v25, v53, s16, -v24
	v_fma_f16 v7, v54, s7, -v7
	v_add_f16_e32 v22, v22, v35
	v_add_f16_e32 v35, v25, v42
	v_mul_f16_e32 v25, 0x3b29, v55
	v_add_f16_e32 v7, v7, v26
	v_fma_f16 v26, v54, s16, v25
	v_fma_f16 v8, v53, s18, v8
	v_add_f16_e32 v37, v26, v48
	v_mul_f16_e32 v26, 0xbbb2, v56
	v_add_f16_e32 v8, v8, v27
	v_fma_f16 v27, v53, s15, -v26
	v_fma_f16 v26, v53, s15, v26
	v_add_f16_e32 v26, v26, v44
	v_mul_u32_u24_sdwa v44, v19, s12 dst_sel:DWORD dst_unused:UNUSED_PAD src0_sel:WORD_1 src1_sel:DWORD
	v_fma_f16 v23, v54, s17, -v23
	v_add_f16_e32 v38, v27, v47
	v_mul_f16_e32 v27, 0xbbb2, v55
	v_add3_u32 v20, 0, v44, v20
	v_pack_b32_f16 v31, v57, v31
	v_add_f16_e32 v23, v23, v39
	v_fma_f16 v24, v53, s16, v24
	v_fma_f16 v25, v54, s16, -v25
	v_fma_f16 v39, v54, s15, v27
	v_mul_f16_e32 v40, 0x3bf7, v56
	v_mul_f16_e32 v42, 0x3bf7, v55
	s_barrier
	ds_write2_b32 v20, v5, v31 offset1:7
	v_pack_b32_f16 v5, v58, v32
	v_pack_b32_f16 v28, v28, v36
	;; [unrolled: 1-line block ×3, first 2 shown]
	v_add_f16_e32 v24, v24, v41
	v_add_f16_e32 v25, v25, v43
	;; [unrolled: 1-line block ×3, first 2 shown]
	v_fma_f16 v41, v53, s14, -v40
	v_fma_f16 v43, v54, s14, v42
	v_fma_f16 v40, v53, s14, v40
	v_fma_f16 v42, v54, s14, -v42
	ds_write2_b32 v20, v5, v28 offset0:14 offset1:21
	v_pack_b32_f16 v5, v29, v34
	v_pack_b32_f16 v28, v30, v33
	ds_write_b32 v20, v3 offset:448
	v_mov_b32_e32 v3, 31
	v_fma_f16 v27, v54, s15, -v27
	v_add_f16_e32 v41, v41, v49
	v_add_f16_e32 v43, v43, v51
	;; [unrolled: 1-line block ×4, first 2 shown]
	ds_write2_b32 v20, v5, v28 offset0:28 offset1:35
	v_pack_b32_f16 v5, v35, v37
	v_pack_b32_f16 v28, v38, v39
	v_mul_lo_u16_sdwa v3, v19, v3 dst_sel:DWORD dst_unused:UNUSED_PAD src0_sel:WORD_1 src1_sel:DWORD
	v_add_f16_e32 v27, v27, v46
	ds_write2_b32 v20, v5, v28 offset0:42 offset1:49
	v_pack_b32_f16 v5, v41, v43
	v_pack_b32_f16 v28, v40, v42
	v_lshrrev_b16_e32 v3, 9, v3
	ds_write2_b32 v20, v5, v28 offset0:56 offset1:63
	v_pack_b32_f16 v5, v26, v27
	v_pack_b32_f16 v24, v24, v25
	v_mul_lo_u16_e32 v3, 17, v3
	ds_write2_b32 v20, v5, v24 offset0:70 offset1:77
	v_pack_b32_f16 v5, v22, v23
	v_pack_b32_f16 v10, v10, v21
	v_sub_u16_sdwa v3, v19, v3 dst_sel:DWORD dst_unused:UNUSED_PAD src0_sel:WORD_1 src1_sel:DWORD
	v_mov_b32_e32 v4, 6
	ds_write2_b32 v20, v5, v10 offset0:84 offset1:91
	v_pack_b32_f16 v5, v8, v9
	v_pack_b32_f16 v6, v6, v7
	v_lshlrev_b32_sdwa v8, v4, v3 dst_sel:DWORD dst_unused:UNUSED_PAD src0_sel:DWORD src1_sel:BYTE_0
	ds_write2_b32 v20, v5, v6 offset0:98 offset1:105
	s_waitcnt lgkmcnt(0)
	s_barrier
	global_load_dwordx4 v[4:7], v8, s[8:9]
	global_load_dwordx4 v[19:22], v8, s[8:9] offset:16
	global_load_dwordx4 v[23:26], v8, s[8:9] offset:32
	;; [unrolled: 1-line block ×3, first 2 shown]
	ds_read2_b32 v[8:9], v15 offset0:92 offset1:211
	ds_read2_b32 v[31:32], v11 offset1:119
	ds_read2_b32 v[33:34], v16 offset0:74 offset1:193
	ds_read2_b32 v[15:16], v12 offset0:110 offset1:229
	;; [unrolled: 1-line block ×6, first 2 shown]
	ds_read_u16 v14, v11 offset:1430
	ds_read_b32 v49, v11 offset:7616
	s_waitcnt lgkmcnt(6)
	v_lshrrev_b32_e32 v17, 16, v15
	v_lshrrev_b32_e32 v11, 16, v32
	;; [unrolled: 1-line block ×6, first 2 shown]
	s_waitcnt lgkmcnt(5)
	v_lshrrev_b32_e32 v45, 16, v37
	v_lshrrev_b32_e32 v46, 16, v38
	s_waitcnt lgkmcnt(3)
	v_lshrrev_b32_e32 v48, 16, v40
	s_waitcnt lgkmcnt(2)
	v_lshrrev_b32_e32 v58, 16, v42
	v_lshrrev_b32_e32 v18, 16, v35
	;; [unrolled: 1-line block ×4, first 2 shown]
	s_waitcnt lgkmcnt(0)
	v_lshrrev_b32_e32 v59, 16, v49
	v_lshrrev_b32_e32 v57, 16, v41
	s_mul_i32 s12, s21, s6
	s_movk_i32 s8, 0x121
	v_mul_lo_u16_sdwa v0, v0, s8 dst_sel:DWORD dst_unused:UNUSED_PAD src0_sel:WORD_1 src1_sel:DWORD
	v_add_u32_sdwa v0, v3, v0 dst_sel:DWORD dst_unused:UNUSED_PAD src0_sel:BYTE_0 src1_sel:DWORD
	s_waitcnt vmcnt(3)
	v_mul_f16_sdwa v50, v5, v17 dst_sel:DWORD dst_unused:UNUSED_PAD src0_sel:WORD_1 src1_sel:DWORD
	v_fma_f16 v50, v5, v15, -v50
	v_mul_f16_sdwa v15, v5, v15 dst_sel:DWORD dst_unused:UNUSED_PAD src0_sel:WORD_1 src1_sel:DWORD
	v_fma_f16 v51, v5, v17, v15
	v_mul_f16_sdwa v15, v4, v32 dst_sel:DWORD dst_unused:UNUSED_PAD src0_sel:WORD_1 src1_sel:DWORD
	v_fma_f16 v53, v4, v11, v15
	v_mul_f16_sdwa v11, v4, v11 dst_sel:DWORD dst_unused:UNUSED_PAD src0_sel:WORD_1 src1_sel:DWORD
	v_fma_f16 v32, v4, v32, -v11
	v_mul_f16_sdwa v4, v8, v7 dst_sel:DWORD dst_unused:UNUSED_PAD src0_sel:DWORD src1_sel:WORD_1
	v_fma_f16 v55, v10, v7, v4
	v_mul_f16_sdwa v4, v10, v7 dst_sel:DWORD dst_unused:UNUSED_PAD src0_sel:DWORD src1_sel:WORD_1
	v_mul_f16_sdwa v5, v14, v6 dst_sel:DWORD dst_unused:UNUSED_PAD src0_sel:DWORD src1_sel:WORD_1
	v_fma_f16 v56, v8, v7, -v4
	s_waitcnt vmcnt(2)
	v_mul_f16_sdwa v4, v12, v19 dst_sel:DWORD dst_unused:UNUSED_PAD src0_sel:DWORD src1_sel:WORD_1
	v_fma_f16 v52, v6, v16, -v5
	v_mul_f16_sdwa v5, v6, v16 dst_sel:DWORD dst_unused:UNUSED_PAD src0_sel:WORD_1 src1_sel:DWORD
	v_fma_f16 v16, v9, v19, -v4
	v_mul_f16_sdwa v4, v9, v19 dst_sel:DWORD dst_unused:UNUSED_PAD src0_sel:DWORD src1_sel:WORD_1
	v_fma_f16 v17, v12, v19, v4
	v_mul_f16_sdwa v4, v13, v20 dst_sel:DWORD dst_unused:UNUSED_PAD src0_sel:DWORD src1_sel:WORD_1
	v_fma_f16 v12, v33, v20, -v4
	v_mul_f16_sdwa v4, v33, v20 dst_sel:DWORD dst_unused:UNUSED_PAD src0_sel:DWORD src1_sel:WORD_1
	v_fma_f16 v13, v13, v20, v4
	v_mul_f16_sdwa v4, v43, v21 dst_sel:DWORD dst_unused:UNUSED_PAD src0_sel:DWORD src1_sel:WORD_1
	v_fma_f16 v8, v34, v21, -v4
	v_mul_f16_sdwa v4, v34, v21 dst_sel:DWORD dst_unused:UNUSED_PAD src0_sel:DWORD src1_sel:WORD_1
	s_waitcnt vmcnt(1)
	v_mul_f16_sdwa v10, v45, v24 dst_sel:DWORD dst_unused:UNUSED_PAD src0_sel:DWORD src1_sel:WORD_1
	v_mul_f16_sdwa v11, v37, v24 dst_sel:DWORD dst_unused:UNUSED_PAD src0_sel:DWORD src1_sel:WORD_1
	v_fma_f16 v54, v14, v6, v5
	v_fma_f16 v9, v43, v21, v4
	v_mul_f16_sdwa v5, v35, v22 dst_sel:DWORD dst_unused:UNUSED_PAD src0_sel:DWORD src1_sel:WORD_1
	v_fma_f16 v10, v37, v24, -v10
	v_fma_f16 v11, v45, v24, v11
	v_mul_f16_sdwa v14, v46, v25 dst_sel:DWORD dst_unused:UNUSED_PAD src0_sel:DWORD src1_sel:WORD_1
	v_mul_f16_sdwa v15, v38, v25 dst_sel:DWORD dst_unused:UNUSED_PAD src0_sel:DWORD src1_sel:WORD_1
	s_waitcnt vmcnt(0)
	v_mul_f16_sdwa v20, v48, v27 dst_sel:DWORD dst_unused:UNUSED_PAD src0_sel:DWORD src1_sel:WORD_1
	v_mul_f16_sdwa v21, v40, v27 dst_sel:DWORD dst_unused:UNUSED_PAD src0_sel:DWORD src1_sel:WORD_1
	;; [unrolled: 1-line block ×4, first 2 shown]
	v_fma_f16 v5, v18, v22, v5
	v_fma_f16 v14, v38, v25, -v14
	v_fma_f16 v15, v46, v25, v15
	v_mul_f16_sdwa v18, v47, v26 dst_sel:DWORD dst_unused:UNUSED_PAD src0_sel:DWORD src1_sel:WORD_1
	v_mul_f16_sdwa v19, v39, v26 dst_sel:DWORD dst_unused:UNUSED_PAD src0_sel:DWORD src1_sel:WORD_1
	v_fma_f16 v20, v40, v27, -v20
	v_fma_f16 v21, v48, v27, v21
	v_fma_f16 v25, v42, v29, -v24
	v_mul_f16_sdwa v24, v42, v29 dst_sel:DWORD dst_unused:UNUSED_PAD src0_sel:DWORD src1_sel:WORD_1
	v_mul_f16_sdwa v27, v49, v30 dst_sel:DWORD dst_unused:UNUSED_PAD src0_sel:DWORD src1_sel:WORD_1
	;; [unrolled: 1-line block ×4, first 2 shown]
	v_fma_f16 v18, v39, v26, -v18
	v_fma_f16 v19, v47, v26, v19
	v_fma_f16 v26, v58, v29, v24
	v_mul_f16_sdwa v24, v59, v30 dst_sel:DWORD dst_unused:UNUSED_PAD src0_sel:DWORD src1_sel:WORD_1
	v_fma_f16 v27, v59, v30, v27
	v_fma_f16 v4, v35, v22, -v4
	v_fma_f16 v6, v36, v23, -v6
	v_fma_f16 v7, v44, v23, v7
	v_mul_f16_sdwa v22, v57, v28 dst_sel:DWORD dst_unused:UNUSED_PAD src0_sel:DWORD src1_sel:WORD_1
	v_mul_f16_sdwa v23, v41, v28 dst_sel:DWORD dst_unused:UNUSED_PAD src0_sel:DWORD src1_sel:WORD_1
	v_fma_f16 v24, v49, v30, -v24
	v_sub_f16_e32 v29, v53, v27
	v_fma_f16 v22, v41, v28, -v22
	v_fma_f16 v23, v57, v28, v23
	v_add_f16_e32 v28, v32, v24
	v_mul_f16_e32 v30, 0xb5c8, v29
	v_mul_f16_e32 v34, 0xb964, v29
	;; [unrolled: 1-line block ×8, first 2 shown]
	v_sub_f16_e32 v47, v32, v24
	v_fma_f16 v33, v28, s7, -v30
	v_fma_f16 v30, v28, s7, v30
	v_fma_f16 v35, v28, s1, -v34
	v_fma_f16 v34, v28, s1, v34
	;; [unrolled: 2-line block ×8, first 2 shown]
	v_add_f16_e32 v29, v53, v27
	v_mul_f16_e32 v48, 0xb5c8, v47
	v_mul_f16_e32 v57, 0xb964, v47
	;; [unrolled: 1-line block ×8, first 2 shown]
	v_fma_f16 v49, v29, s7, v48
	v_fma_f16 v48, v29, s7, -v48
	v_fma_f16 v58, v29, s1, v57
	v_fma_f16 v57, v29, s1, -v57
	;; [unrolled: 2-line block ×8, first 2 shown]
	v_add_f16_e32 v32, v32, v31
	v_add_f16_sdwa v47, v53, v31 dst_sel:DWORD dst_unused:UNUSED_PAD src0_sel:DWORD src1_sel:WORD_1
	v_add_f16_e32 v33, v33, v31
	v_add_f16_sdwa v49, v49, v31 dst_sel:DWORD dst_unused:UNUSED_PAD src0_sel:DWORD src1_sel:WORD_1
	;; [unrolled: 2-line block ×17, first 2 shown]
	v_add_f16_e32 v31, v32, v50
	v_add_f16_e32 v31, v31, v52
	;; [unrolled: 1-line block ×29, first 2 shown]
	v_add_f16_sdwa v27, v31, v27 dst_sel:WORD_1 dst_unused:UNUSED_PAD src0_sel:DWORD src1_sel:DWORD
	v_add_f16_e32 v31, v51, v26
	v_sub_f16_e32 v26, v51, v26
	v_or_b32_e32 v24, v27, v24
	v_add_f16_e32 v27, v50, v25
	v_mul_f16_e32 v32, 0xb964, v26
	v_sub_f16_e32 v25, v50, v25
	v_fma_f16 v47, v27, s1, -v32
	v_add_f16_e32 v33, v47, v33
	v_mul_f16_e32 v47, 0xb964, v25
	v_fma_f16 v32, v27, s1, v32
	v_fma_f16 v50, v31, s1, v47
	v_add_f16_e32 v30, v32, v30
	v_fma_f16 v32, v31, s1, -v47
	v_mul_f16_e32 v47, 0xbbf7, v26
	v_add_f16_e32 v32, v32, v48
	v_fma_f16 v48, v27, s14, -v47
	v_add_f16_e32 v35, v48, v35
	v_mul_f16_e32 v48, 0xbbf7, v25
	v_fma_f16 v47, v27, s14, v47
	v_add_f16_e32 v49, v50, v49
	v_fma_f16 v50, v31, s14, v48
	v_add_f16_e32 v34, v47, v34
	v_fma_f16 v47, v31, s14, -v48
	v_mul_f16_e32 v48, 0xba62, v26
	v_fma_f16 v51, v27, s17, -v48
	v_add_f16_e32 v37, v51, v37
	v_mul_f16_e32 v51, 0xba62, v25
	v_fma_f16 v48, v27, s17, v48
	v_add_f16_e32 v50, v50, v53
	v_fma_f16 v53, v31, s17, v51
	v_add_f16_e32 v36, v48, v36
	v_fma_f16 v48, v31, s17, -v51
	v_mul_f16_e32 v51, 0xb1e1, v26
	v_add_f16_e32 v47, v47, v57
	v_fma_f16 v57, v27, s22, -v51
	v_add_f16_e32 v39, v57, v39
	v_mul_f16_e32 v57, 0xb1e1, v25
	v_fma_f16 v51, v27, s22, v51
	v_add_f16_e32 v53, v53, v58
	v_fma_f16 v58, v31, s22, v57
	v_add_f16_e32 v38, v51, v38
	v_fma_f16 v51, v31, s22, -v57
	v_mul_f16_e32 v57, 0x3836, v26
	v_add_f16_e32 v48, v48, v59
	;; [unrolled: 10-line block ×4, first 2 shown]
	v_fma_f16 v63, v27, s16, -v61
	v_add_f16_e32 v45, v63, v45
	v_mul_f16_e32 v63, 0x3b29, v25
	v_fma_f16 v61, v27, s16, v61
	v_mul_f16_e32 v26, 0x35c8, v26
	v_add_f16_e32 v62, v62, v64
	v_fma_f16 v64, v31, s16, v63
	v_add_f16_e32 v44, v61, v44
	v_fma_f16 v61, v31, s16, -v63
	v_fma_f16 v63, v27, s7, -v26
	v_mul_f16_e32 v25, 0x35c8, v25
	v_fma_f16 v26, v27, s7, v26
	v_add_f16_e32 v46, v63, v46
	v_fma_f16 v63, v31, s7, v25
	v_add_f16_e32 v26, v26, v28
	v_fma_f16 v25, v31, s7, -v25
	v_add_f16_e32 v28, v54, v23
	v_sub_f16_e32 v23, v54, v23
	v_add_f16_e32 v25, v25, v29
	v_add_f16_e32 v27, v52, v22
	v_mul_f16_e32 v29, 0xbb29, v23
	v_sub_f16_e32 v22, v52, v22
	v_fma_f16 v31, v27, s16, -v29
	v_add_f16_e32 v31, v31, v33
	v_mul_f16_e32 v33, 0xbb29, v22
	v_fma_f16 v29, v27, s16, v29
	v_add_f16_e32 v29, v29, v30
	v_fma_f16 v30, v28, s16, -v33
	v_add_f16_e32 v30, v30, v32
	v_mul_f16_e32 v32, 0xba62, v23
	v_fma_f16 v52, v28, s16, v33
	v_fma_f16 v33, v27, s17, -v32
	v_add_f16_e32 v33, v33, v35
	v_mul_f16_e32 v35, 0xba62, v22
	v_fma_f16 v32, v27, s17, v32
	v_add_f16_e32 v49, v52, v49
	v_fma_f16 v52, v28, s17, v35
	v_add_f16_e32 v32, v32, v34
	v_fma_f16 v34, v28, s17, -v35
	v_mul_f16_e32 v35, 0x31e1, v23
	v_add_f16_e32 v34, v34, v47
	v_fma_f16 v47, v27, s22, -v35
	v_add_f16_e32 v37, v47, v37
	v_mul_f16_e32 v47, 0x31e1, v22
	v_fma_f16 v35, v27, s22, v35
	v_add_f16_e32 v50, v52, v50
	v_fma_f16 v52, v28, s22, v47
	v_add_f16_e32 v35, v35, v36
	v_fma_f16 v36, v28, s22, -v47
	v_mul_f16_e32 v47, 0x3bb2, v23
	v_add_f16_e32 v36, v36, v48
	;; [unrolled: 10-line block ×3, first 2 shown]
	v_fma_f16 v51, v27, s1, -v48
	v_add_f16_e32 v41, v51, v41
	v_mul_f16_e32 v51, 0x3964, v22
	v_fma_f16 v48, v27, s1, v48
	v_fma_f16 v54, v28, s1, v51
	v_add_f16_e32 v40, v48, v40
	v_fma_f16 v48, v28, s1, -v51
	v_mul_f16_e32 v51, 0xb5c8, v23
	v_add_f16_e32 v48, v48, v57
	v_fma_f16 v57, v27, s7, -v51
	v_add_f16_e32 v43, v57, v43
	v_mul_f16_e32 v57, 0xb5c8, v22
	v_fma_f16 v51, v27, s7, v51
	v_add_f16_e32 v59, v59, v65
	v_add_f16_e32 v53, v53, v58
	v_fma_f16 v58, v28, s7, v57
	v_add_f16_e32 v42, v51, v42
	v_fma_f16 v51, v28, s7, -v57
	v_mul_f16_e32 v57, 0xbbf7, v23
	v_add_f16_e32 v51, v51, v59
	v_fma_f16 v59, v27, s14, -v57
	v_add_f16_e32 v45, v59, v45
	v_mul_f16_e32 v59, 0xbbf7, v22
	v_fma_f16 v57, v27, s14, v57
	v_mul_f16_e32 v23, 0xb836, v23
	v_add_f16_e32 v54, v54, v60
	v_fma_f16 v60, v28, s14, v59
	v_add_f16_e32 v44, v57, v44
	v_fma_f16 v57, v28, s14, -v59
	v_fma_f16 v59, v27, s18, -v23
	v_mul_f16_e32 v22, 0xb836, v22
	v_fma_f16 v23, v27, s18, v23
	v_add_f16_e32 v46, v59, v46
	v_fma_f16 v59, v28, s18, v22
	v_add_f16_e32 v23, v23, v26
	v_fma_f16 v22, v28, s18, -v22
	v_add_f16_e32 v26, v55, v21
	v_sub_f16_e32 v21, v55, v21
	v_add_f16_e32 v22, v22, v25
	v_add_f16_e32 v25, v56, v20
	v_mul_f16_e32 v27, 0xbbf7, v21
	v_sub_f16_e32 v20, v56, v20
	v_fma_f16 v28, v25, s14, -v27
	v_add_f16_e32 v28, v28, v31
	v_mul_f16_e32 v31, 0xbbf7, v20
	v_fma_f16 v27, v25, s14, v27
	v_add_f16_e32 v27, v27, v29
	v_fma_f16 v29, v26, s14, -v31
	v_add_f16_e32 v29, v29, v30
	v_mul_f16_e32 v30, 0xb1e1, v21
	v_fma_f16 v55, v26, s14, v31
	v_fma_f16 v31, v25, s22, -v30
	v_add_f16_e32 v31, v31, v33
	v_mul_f16_e32 v33, 0xb1e1, v20
	v_fma_f16 v30, v25, s22, v30
	v_add_f16_e32 v49, v55, v49
	v_fma_f16 v55, v26, s22, v33
	v_add_f16_e32 v30, v30, v32
	v_fma_f16 v32, v26, s22, -v33
	v_mul_f16_e32 v33, 0x3bb2, v21
	v_add_f16_e32 v32, v32, v34
	v_fma_f16 v34, v25, s15, -v33
	v_add_f16_e32 v34, v34, v37
	v_mul_f16_e32 v37, 0x3bb2, v20
	v_fma_f16 v33, v25, s15, v33
	v_add_f16_e32 v33, v33, v35
	v_fma_f16 v35, v26, s15, -v37
	v_add_f16_e32 v35, v35, v36
	v_mul_f16_e32 v36, 0x35c8, v21
	v_add_f16_e32 v50, v55, v50
	v_fma_f16 v55, v26, s15, v37
	v_fma_f16 v37, v25, s7, -v36
	v_add_f16_e32 v37, v37, v39
	v_mul_f16_e32 v39, 0x35c8, v20
	v_fma_f16 v36, v25, s7, v36
	v_add_f16_e32 v52, v55, v52
	v_fma_f16 v55, v26, s7, v39
	v_add_f16_e32 v36, v36, v38
	v_fma_f16 v38, v26, s7, -v39
	v_mul_f16_e32 v39, 0xbb29, v21
	v_add_f16_e32 v38, v38, v47
	v_fma_f16 v47, v25, s16, -v39
	v_add_f16_e32 v41, v47, v41
	v_mul_f16_e32 v47, 0xbb29, v20
	v_fma_f16 v39, v25, s16, v39
	v_add_f16_e32 v53, v55, v53
	v_fma_f16 v55, v26, s16, v47
	v_add_f16_e32 v39, v39, v40
	v_fma_f16 v40, v26, s16, -v47
	v_mul_f16_e32 v47, 0xb836, v21
	v_add_f16_e32 v40, v40, v48
	;; [unrolled: 10-line block ×3, first 2 shown]
	v_fma_f16 v51, v25, s17, -v48
	v_add_f16_e32 v45, v51, v45
	v_mul_f16_e32 v51, 0x3a62, v20
	v_fma_f16 v48, v25, s17, v48
	v_mul_f16_e32 v21, 0x3964, v21
	v_fma_f16 v56, v26, s17, v51
	v_add_f16_e32 v44, v48, v44
	v_fma_f16 v48, v26, s17, -v51
	v_fma_f16 v51, v25, s1, -v21
	v_mul_f16_e32 v20, 0x3964, v20
	v_add_f16_e32 v46, v51, v46
	v_fma_f16 v51, v26, s1, v20
	v_fma_f16 v20, v26, s1, -v20
	v_add_f16_e32 v20, v20, v22
	v_add_f16_e32 v22, v16, v18
	v_sub_f16_e32 v16, v16, v18
	v_add_f16_e32 v18, v17, v19
	v_sub_f16_e32 v17, v17, v19
	v_fma_f16 v21, v25, s1, v21
	v_mul_f16_e32 v19, 0xbbb2, v17
	v_add_f16_e32 v21, v21, v23
	v_fma_f16 v23, v22, s15, -v19
	v_mul_f16_e32 v25, 0xbbb2, v16
	v_fma_f16 v19, v22, s15, v19
	v_fma_f16 v26, v18, s15, v25
	v_add_f16_e32 v19, v19, v27
	v_fma_f16 v25, v18, s15, -v25
	v_mul_f16_e32 v27, 0x3836, v17
	v_add_f16_e32 v23, v23, v28
	v_add_f16_e32 v25, v25, v29
	v_fma_f16 v28, v22, s18, -v27
	v_mul_f16_e32 v29, 0x3836, v16
	v_fma_f16 v27, v22, s18, v27
	v_add_f16_e32 v28, v28, v31
	v_fma_f16 v31, v18, s18, v29
	v_add_f16_e32 v27, v27, v30
	v_fma_f16 v29, v18, s18, -v29
	v_mul_f16_e32 v30, 0x3964, v17
	v_add_f16_e32 v29, v29, v32
	v_fma_f16 v32, v22, s1, -v30
	v_add_f16_e32 v32, v32, v34
	v_mul_f16_e32 v34, 0x3964, v16
	v_fma_f16 v30, v22, s1, v30
	v_add_f16_e32 v26, v26, v49
	v_fma_f16 v49, v18, s1, v34
	v_add_f16_e32 v30, v30, v33
	v_fma_f16 v33, v18, s1, -v34
	v_mul_f16_e32 v34, 0xbb29, v17
	v_add_f16_e32 v33, v33, v35
	v_fma_f16 v35, v22, s16, -v34
	v_add_f16_e32 v35, v35, v37
	;; [unrolled: 10-line block ×3, first 2 shown]
	v_mul_f16_e32 v41, 0xb1e1, v16
	v_fma_f16 v37, v22, s22, v37
	v_add_f16_e32 v37, v37, v39
	v_fma_f16 v39, v18, s22, -v41
	v_add_f16_e32 v39, v39, v40
	v_mul_f16_e32 v40, 0x3bf7, v17
	v_add_f16_e32 v49, v49, v52
	v_fma_f16 v52, v18, s22, v41
	v_fma_f16 v41, v22, s14, -v40
	v_add_f16_e32 v41, v41, v43
	v_mul_f16_e32 v43, 0x3bf7, v16
	v_fma_f16 v40, v22, s14, v40
	v_add_f16_e32 v50, v50, v53
	v_fma_f16 v53, v18, s14, v43
	v_add_f16_e32 v40, v40, v42
	v_fma_f16 v42, v18, s14, -v43
	v_mul_f16_e32 v43, 0xb5c8, v17
	v_add_f16_e32 v42, v42, v47
	v_fma_f16 v47, v22, s7, -v43
	v_add_f16_e32 v45, v47, v45
	v_mul_f16_e32 v47, 0xb5c8, v16
	v_fma_f16 v43, v22, s7, v43
	v_mul_f16_e32 v17, 0xba62, v17
	v_add_f16_e32 v52, v52, v54
	v_fma_f16 v54, v18, s7, v47
	v_add_f16_e32 v43, v43, v44
	v_fma_f16 v44, v18, s7, -v47
	v_fma_f16 v47, v22, s17, -v17
	v_mul_f16_e32 v16, 0xba62, v16
	v_add_f16_e32 v46, v47, v46
	v_fma_f16 v47, v18, s17, v16
	v_fma_f16 v16, v18, s17, -v16
	v_add_f16_e32 v16, v16, v20
	v_add_f16_e32 v20, v13, v15
	v_sub_f16_e32 v13, v13, v15
	v_fma_f16 v17, v22, s17, v17
	v_add_f16_e32 v18, v12, v14
	v_sub_f16_e32 v12, v12, v14
	v_mul_f16_e32 v14, 0xba62, v13
	v_add_f16_e32 v17, v17, v21
	v_fma_f16 v15, v18, s17, -v14
	v_mul_f16_e32 v21, 0xba62, v12
	v_fma_f16 v14, v18, s17, v14
	v_fma_f16 v22, v20, s17, v21
	v_add_f16_e32 v14, v14, v19
	v_fma_f16 v19, v20, s17, -v21
	v_mul_f16_e32 v21, 0x3bb2, v13
	v_add_f16_e32 v15, v15, v23
	v_add_f16_e32 v19, v19, v25
	v_fma_f16 v23, v18, s15, -v21
	v_mul_f16_e32 v25, 0x3bb2, v12
	v_fma_f16 v21, v18, s15, v21
	v_add_f16_e32 v22, v22, v26
	v_fma_f16 v26, v20, s15, v25
	v_add_f16_e32 v21, v21, v27
	v_fma_f16 v25, v20, s15, -v25
	v_mul_f16_e32 v27, 0xb5c8, v13
	v_add_f16_e32 v23, v23, v28
	v_add_f16_e32 v25, v25, v29
	v_fma_f16 v28, v18, s7, -v27
	v_mul_f16_e32 v29, 0xb5c8, v12
	v_fma_f16 v27, v18, s7, v27
	v_add_f16_e32 v26, v26, v31
	;; [unrolled: 10-line block ×3, first 2 shown]
	v_add_f16_e32 v32, v32, v35
	v_fma_f16 v35, v20, s18, v33
	v_add_f16_e32 v30, v30, v34
	v_fma_f16 v33, v20, s18, -v33
	v_mul_f16_e32 v34, 0x3bf7, v13
	v_add_f16_e32 v57, v57, v61
	v_add_f16_e32 v33, v33, v36
	v_fma_f16 v36, v18, s14, -v34
	v_add_f16_e32 v48, v48, v57
	v_add_f16_e32 v36, v36, v38
	v_mul_f16_e32 v38, 0x3bf7, v12
	v_fma_f16 v34, v18, s14, v34
	v_add_f16_e32 v44, v44, v48
	v_fma_f16 v48, v20, s14, v38
	v_add_f16_e32 v34, v34, v37
	v_fma_f16 v37, v20, s14, -v38
	v_mul_f16_e32 v38, 0xb964, v13
	v_add_f16_e32 v37, v37, v39
	v_fma_f16 v39, v18, s1, -v38
	v_add_f16_e32 v39, v39, v41
	v_mul_f16_e32 v41, 0xb964, v12
	v_fma_f16 v38, v18, s1, v38
	v_add_f16_e32 v31, v31, v49
	v_fma_f16 v49, v20, s1, v41
	v_add_f16_e32 v38, v38, v40
	v_fma_f16 v40, v20, s1, -v41
	v_mul_f16_e32 v41, 0xb1e1, v13
	v_add_f16_e32 v40, v40, v42
	v_fma_f16 v42, v18, s22, -v41
	v_add_f16_e32 v42, v42, v45
	v_mul_f16_e32 v45, 0xb1e1, v12
	v_fma_f16 v41, v18, s22, v41
	v_add_f16_e32 v41, v41, v43
	v_fma_f16 v43, v20, s22, -v45
	v_mul_f16_e32 v13, 0x3b29, v13
	v_add_f16_e32 v43, v43, v44
	v_fma_f16 v44, v18, s16, -v13
	v_mul_f16_e32 v12, 0x3b29, v12
	v_fma_f16 v13, v18, s16, v13
	v_add_f16_e32 v35, v35, v50
	v_fma_f16 v50, v20, s22, v45
	v_fma_f16 v45, v20, s16, v12
	v_add_f16_e32 v13, v13, v17
	v_fma_f16 v12, v20, s16, -v12
	v_add_f16_e32 v17, v9, v11
	v_sub_f16_e32 v9, v9, v11
	v_add_f16_e32 v12, v12, v16
	v_add_f16_e32 v16, v8, v10
	v_sub_f16_e32 v8, v8, v10
	v_mul_f16_e32 v10, 0xb836, v9
	v_fma_f16 v11, v16, s18, -v10
	v_add_f16_e32 v11, v11, v15
	v_mul_f16_e32 v15, 0xb836, v8
	v_fma_f16 v10, v16, s18, v10
	v_fma_f16 v18, v17, s18, v15
	v_add_f16_e32 v10, v10, v14
	v_fma_f16 v14, v17, s18, -v15
	v_mul_f16_e32 v15, 0x3b29, v9
	v_add_f16_e32 v14, v14, v19
	v_fma_f16 v19, v16, s16, -v15
	v_mul_f16_e32 v20, 0x3b29, v8
	v_fma_f16 v15, v16, s16, v15
	v_add_f16_e32 v63, v63, v68
	v_add_f16_e32 v18, v18, v22
	v_fma_f16 v22, v17, s16, v20
	v_add_f16_e32 v15, v15, v21
	v_fma_f16 v20, v17, s16, -v20
	v_mul_f16_e32 v21, 0xbbf7, v9
	v_add_f16_e32 v59, v59, v63
	v_add_f16_e32 v19, v19, v23
	;; [unrolled: 1-line block ×3, first 2 shown]
	v_fma_f16 v23, v16, s14, -v21
	v_mul_f16_e32 v25, 0xbbf7, v8
	v_fma_f16 v21, v16, s14, v21
	v_add_f16_e32 v51, v51, v59
	v_add_f16_e32 v22, v22, v26
	v_fma_f16 v26, v17, s14, v25
	v_add_f16_e32 v21, v21, v27
	v_fma_f16 v25, v17, s14, -v25
	v_mul_f16_e32 v27, 0x3a62, v9
	v_add_f16_e32 v47, v47, v51
	v_add_f16_e32 v23, v23, v28
	;; [unrolled: 1-line block ×3, first 2 shown]
	v_fma_f16 v28, v16, s17, -v27
	v_mul_f16_e32 v29, 0x3a62, v8
	v_fma_f16 v27, v16, s17, v27
	v_add_f16_e32 v45, v45, v47
	v_add_f16_e32 v47, v27, v30
	v_fma_f16 v27, v17, s17, -v29
	v_add_f16_e32 v64, v64, v66
	v_add_f16_e32 v58, v58, v62
	;; [unrolled: 1-line block ×3, first 2 shown]
	v_mul_f16_e32 v27, 0xb5c8, v9
	v_add_f16_e32 v60, v60, v64
	v_add_f16_e32 v55, v55, v58
	;; [unrolled: 1-line block ×3, first 2 shown]
	v_fma_f16 v31, v17, s17, v29
	v_fma_f16 v29, v16, s7, -v27
	v_add_f16_e32 v56, v56, v60
	v_add_f16_e32 v53, v53, v55
	v_add_f16_e32 v48, v48, v52
	v_add_f16_e32 v52, v29, v36
	v_mul_f16_e32 v29, 0xb5c8, v8
	v_fma_f16 v27, v16, s7, v27
	v_add_f16_e32 v54, v54, v56
	v_add_f16_e32 v49, v49, v53
	;; [unrolled: 1-line block ×3, first 2 shown]
	v_fma_f16 v27, v17, s7, -v29
	v_add_f16_e32 v50, v50, v54
	v_add_f16_e32 v54, v27, v37
	v_mul_f16_e32 v27, 0xb1e1, v9
	v_fma_f16 v30, v17, s7, v29
	v_fma_f16 v29, v16, s22, -v27
	v_add_f16_e32 v39, v29, v39
	v_mul_f16_e32 v29, 0xb1e1, v8
	v_fma_f16 v27, v16, s22, v27
	v_sub_f16_e32 v57, v5, v7
	v_add_f16_e32 v38, v27, v38
	v_fma_f16 v27, v17, s22, -v29
	v_add_f16_e32 v55, v4, v6
	v_sub_f16_e32 v56, v4, v6
	v_mul_f16_e32 v4, 0xb1e1, v57
	v_add_f16_e32 v40, v27, v40
	v_mul_f16_e32 v27, 0x3964, v9
	v_add_f16_e32 v37, v5, v7
	v_fma_f16 v5, v55, s22, -v4
	v_add_f16_e32 v48, v30, v48
	v_fma_f16 v30, v17, s22, v29
	v_fma_f16 v29, v16, s1, -v27
	v_add_f16_e32 v33, v5, v11
	v_mul_f16_e32 v5, 0xb1e1, v56
	v_add_f16_e32 v42, v29, v42
	v_mul_f16_e32 v29, 0x3964, v8
	v_fma_f16 v27, v16, s1, v27
	v_fma_f16 v6, v37, s22, v5
	v_add_f16_e32 v41, v27, v41
	v_fma_f16 v27, v17, s1, -v29
	v_mul_f16_e32 v9, 0xbbb2, v9
	v_add_f16_e32 v34, v6, v18
	v_mul_f16_e32 v6, 0x35c8, v57
	v_add_f16_e32 v44, v44, v46
	v_add_f16_e32 v43, v27, v43
	v_fma_f16 v27, v16, s15, -v9
	v_mul_f16_e32 v8, 0xbbb2, v8
	v_fma_f16 v7, v55, s7, -v6
	v_add_f16_e32 v46, v31, v35
	v_add_f16_e32 v44, v27, v44
	v_fma_f16 v27, v17, s15, v8
	v_fma_f16 v8, v17, s15, -v8
	v_add_f16_e32 v31, v7, v19
	v_mul_f16_e32 v7, 0x35c8, v56
	v_add_f16_e32 v36, v8, v12
	v_fma_f16 v8, v37, s7, v7
	v_add_f16_e32 v28, v28, v32
	v_fma_f16 v9, v16, s15, v9
	v_add_f16_e32 v32, v8, v22
	v_mul_f16_e32 v8, 0xb836, v57
	v_add_f16_e32 v35, v9, v13
	v_fma_f16 v9, v55, s18, -v8
	v_add_f16_e32 v49, v30, v49
	v_fma_f16 v30, v17, s1, v29
	v_fma_f16 v4, v55, s22, v4
	v_add_f16_e32 v29, v9, v23
	v_mul_f16_e32 v9, 0xb836, v56
	v_add_f16_e32 v4, v4, v10
	v_fma_f16 v10, v37, s18, v9
	v_add_f16_e32 v50, v30, v50
	v_add_f16_e32 v30, v10, v26
	v_mul_f16_e32 v10, 0x3964, v57
	v_fma_f16 v11, v55, s1, -v10
	v_add_f16_e32 v45, v27, v45
	v_add_f16_e32 v27, v11, v28
	v_mul_f16_e32 v11, 0x3964, v56
	v_fma_f16 v12, v37, s1, v11
	v_add_f16_e32 v28, v12, v46
	v_mul_f16_e32 v12, 0xba62, v57
	v_fma_f16 v9, v37, s18, -v9
	v_fma_f16 v13, v55, s17, -v12
	;; [unrolled: 1-line block ×3, first 2 shown]
	v_add_f16_e32 v9, v9, v25
	v_add_f16_e32 v25, v13, v52
	v_mul_f16_e32 v13, 0xba62, v56
	v_add_f16_e32 v5, v5, v14
	v_fma_f16 v14, v37, s17, v13
	v_fma_f16 v6, v55, s7, v6
	v_add_f16_e32 v26, v14, v48
	v_mul_f16_e32 v14, 0x3b29, v57
	v_add_f16_e32 v6, v6, v15
	v_fma_f16 v15, v55, s16, -v14
	v_add_f16_e32 v18, v15, v39
	v_mul_f16_e32 v15, 0x3b29, v56
	v_fma_f16 v8, v55, s18, v8
	v_fma_f16 v16, v37, s16, v15
	v_add_f16_e32 v8, v8, v21
	v_add_f16_e32 v21, v16, v49
	v_mul_f16_e32 v16, 0xbbb2, v57
	v_fma_f16 v17, v55, s15, -v16
	v_fma_f16 v7, v37, s7, -v7
	;; [unrolled: 1-line block ×3, first 2 shown]
	v_add_f16_e32 v19, v17, v42
	v_mul_f16_e32 v17, 0xbbb2, v56
	v_add_f16_e32 v7, v7, v20
	v_add_f16_e32 v15, v15, v40
	v_fma_f16 v20, v37, s15, v17
	v_fma_f16 v16, v55, s15, v16
	v_fma_f16 v17, v37, s15, -v17
	v_addc_co_u32_e64 v40, s[6:7], 0, 0, vcc
	v_add_f16_e32 v16, v16, v41
	v_add_f16_e32 v17, v17, v43
	v_mul_lo_u32 v42, v40, s4
	v_mul_lo_u32 v43, v1, s5
	v_mad_u64_u32 v[40:41], s[4:5], v1, s4, 0
	v_fma_f16 v14, v55, s16, v14
	v_add_f16_e32 v14, v14, v38
	v_mul_f16_e32 v38, 0x3bf7, v56
	s_lshl_b64 s[4:5], s[10:11], 2
	v_fma_f16 v10, v55, s1, v10
	v_fma_f16 v11, v37, s1, -v11
	v_fma_f16 v1, v37, s14, -v38
	s_add_u32 s1, s2, s4
	v_add_f16_e32 v36, v1, v36
	v_add3_u32 v41, v41, v43, v42
	v_mul_lo_u32 v1, v0, s0
	s_addc_u32 s4, s3, s5
	s_lshl_b64 s[2:3], s[12:13], 2
	v_fma_f16 v13, v37, s17, -v13
	v_fma_f16 v23, v37, s14, v38
	s_add_u32 s1, s1, s2
	v_lshlrev_b64 v[37:38], 2, v[40:41]
	s_addc_u32 s2, s4, s3
	v_mov_b32_e32 v3, s2
	v_add_co_u32_e32 v0, vcc, s1, v37
	v_addc_co_u32_e32 v3, vcc, v3, v38, vcc
	v_lshlrev_b64 v[37:38], 2, v[1:2]
	s_mul_i32 s0, s0, 17
	v_add_co_u32_e32 v37, vcc, v0, v37
	v_addc_co_u32_e32 v38, vcc, v3, v38, vcc
	v_add_u32_e32 v1, s0, v1
	global_store_dword v[37:38], v24, off
	v_lshlrev_b64 v[37:38], 2, v[1:2]
	v_add_u32_e32 v1, s0, v1
	v_add_co_u32_e32 v37, vcc, v0, v37
	v_pack_b32_f16 v24, v33, v34
	v_lshlrev_b64 v[33:34], 2, v[1:2]
	v_addc_co_u32_e32 v38, vcc, v3, v38, vcc
	v_add_u32_e32 v1, s0, v1
	global_store_dword v[37:38], v24, off
	v_add_co_u32_e32 v33, vcc, v0, v33
	v_pack_b32_f16 v24, v31, v32
	v_lshlrev_b64 v[31:32], 2, v[1:2]
	v_addc_co_u32_e32 v34, vcc, v3, v34, vcc
	v_add_u32_e32 v1, s0, v1
	global_store_dword v[33:34], v24, off
	;; [unrolled: 6-line block ×3, first 2 shown]
	v_add_co_u32_e32 v29, vcc, v0, v29
	v_pack_b32_f16 v24, v27, v28
	v_lshlrev_b64 v[27:28], 2, v[1:2]
	v_addc_co_u32_e32 v30, vcc, v3, v30, vcc
	v_add_co_u32_e32 v27, vcc, v0, v27
	global_store_dword v[29:30], v24, off
	v_addc_co_u32_e32 v28, vcc, v3, v28, vcc
	v_pack_b32_f16 v24, v25, v26
	v_add_u32_e32 v1, s0, v1
	global_store_dword v[27:28], v24, off
	v_lshlrev_b64 v[24:25], 2, v[1:2]
	v_pack_b32_f16 v18, v18, v21
	v_add_co_u32_e32 v24, vcc, v0, v24
	v_addc_co_u32_e32 v25, vcc, v3, v25, vcc
	v_add_u32_e32 v1, s0, v1
	global_store_dword v[24:25], v18, off
	v_lshlrev_b64 v[24:25], 2, v[1:2]
	v_add_f16_e32 v22, v20, v50
	v_add_co_u32_e32 v24, vcc, v0, v24
	v_addc_co_u32_e32 v25, vcc, v3, v25, vcc
	v_pack_b32_f16 v18, v19, v22
	v_add_u32_e32 v1, s0, v1
	v_mul_f16_e32 v39, 0x3bf7, v57
	global_store_dword v[24:25], v18, off
	v_lshlrev_b64 v[18:19], 2, v[1:2]
	v_fma_f16 v20, v55, s14, -v39
	v_add_f16_e32 v20, v20, v44
	v_add_f16_e32 v23, v23, v45
	v_add_co_u32_e32 v18, vcc, v0, v18
	v_addc_co_u32_e32 v19, vcc, v3, v19, vcc
	v_pack_b32_f16 v20, v20, v23
	v_add_u32_e32 v1, s0, v1
	global_store_dword v[18:19], v20, off
	v_lshlrev_b64 v[18:19], 2, v[1:2]
	v_fma_f16 v39, v55, s14, v39
	v_add_f16_e32 v35, v39, v35
	v_add_co_u32_e32 v18, vcc, v0, v18
	v_addc_co_u32_e32 v19, vcc, v3, v19, vcc
	v_pack_b32_f16 v20, v35, v36
	v_add_u32_e32 v1, s0, v1
	global_store_dword v[18:19], v20, off
	v_lshlrev_b64 v[18:19], 2, v[1:2]
	v_pack_b32_f16 v16, v16, v17
	v_add_co_u32_e32 v18, vcc, v0, v18
	v_addc_co_u32_e32 v19, vcc, v3, v19, vcc
	v_add_u32_e32 v1, s0, v1
	global_store_dword v[18:19], v16, off
	v_lshlrev_b64 v[16:17], 2, v[1:2]
	v_pack_b32_f16 v14, v14, v15
	v_add_co_u32_e32 v16, vcc, v0, v16
	v_addc_co_u32_e32 v17, vcc, v3, v17, vcc
	v_add_u32_e32 v1, s0, v1
	global_store_dword v[16:17], v14, off
	v_lshlrev_b64 v[14:15], 2, v[1:2]
	v_fma_f16 v12, v55, s17, v12
	v_add_f16_e32 v12, v12, v53
	v_add_f16_e32 v13, v13, v54
	v_add_co_u32_e32 v14, vcc, v0, v14
	v_addc_co_u32_e32 v15, vcc, v3, v15, vcc
	v_pack_b32_f16 v12, v12, v13
	v_add_u32_e32 v1, s0, v1
	global_store_dword v[14:15], v12, off
	v_lshlrev_b64 v[12:13], 2, v[1:2]
	v_add_f16_e32 v10, v10, v47
	v_add_f16_e32 v11, v11, v51
	v_add_co_u32_e32 v12, vcc, v0, v12
	v_addc_co_u32_e32 v13, vcc, v3, v13, vcc
	v_pack_b32_f16 v10, v10, v11
	v_add_u32_e32 v1, s0, v1
	global_store_dword v[12:13], v10, off
	v_lshlrev_b64 v[10:11], 2, v[1:2]
	v_pack_b32_f16 v8, v8, v9
	v_add_co_u32_e32 v10, vcc, v0, v10
	v_addc_co_u32_e32 v11, vcc, v3, v11, vcc
	v_add_u32_e32 v1, s0, v1
	global_store_dword v[10:11], v8, off
	v_lshlrev_b64 v[8:9], 2, v[1:2]
	v_add_u32_e32 v1, s0, v1
	v_add_co_u32_e32 v8, vcc, v0, v8
	v_lshlrev_b64 v[1:2], 2, v[1:2]
	v_addc_co_u32_e32 v9, vcc, v3, v9, vcc
	v_add_co_u32_e32 v0, vcc, v0, v1
	v_pack_b32_f16 v6, v6, v7
	v_addc_co_u32_e32 v1, vcc, v3, v2, vcc
	v_pack_b32_f16 v2, v4, v5
	global_store_dword v[8:9], v6, off
	global_store_dword v[0:1], v2, off
	s_endpgm
	.section	.rodata,"a",@progbits
	.p2align	6, 0x0
	.amdhsa_kernel fft_rtc_fwd_len289_factors_17_17_wgs_119_tpt_17_half_op_CI_CI_sbrc_z_xy_diag_dirReg
		.amdhsa_group_segment_fixed_size 0
		.amdhsa_private_segment_fixed_size 0
		.amdhsa_kernarg_size 104
		.amdhsa_user_sgpr_count 6
		.amdhsa_user_sgpr_private_segment_buffer 1
		.amdhsa_user_sgpr_dispatch_ptr 0
		.amdhsa_user_sgpr_queue_ptr 0
		.amdhsa_user_sgpr_kernarg_segment_ptr 1
		.amdhsa_user_sgpr_dispatch_id 0
		.amdhsa_user_sgpr_flat_scratch_init 0
		.amdhsa_user_sgpr_private_segment_size 0
		.amdhsa_uses_dynamic_stack 0
		.amdhsa_system_sgpr_private_segment_wavefront_offset 0
		.amdhsa_system_sgpr_workgroup_id_x 1
		.amdhsa_system_sgpr_workgroup_id_y 0
		.amdhsa_system_sgpr_workgroup_id_z 0
		.amdhsa_system_sgpr_workgroup_info 0
		.amdhsa_system_vgpr_workitem_id 0
		.amdhsa_next_free_vgpr 76
		.amdhsa_next_free_sgpr 24
		.amdhsa_reserve_vcc 1
		.amdhsa_reserve_flat_scratch 0
		.amdhsa_float_round_mode_32 0
		.amdhsa_float_round_mode_16_64 0
		.amdhsa_float_denorm_mode_32 3
		.amdhsa_float_denorm_mode_16_64 3
		.amdhsa_dx10_clamp 1
		.amdhsa_ieee_mode 1
		.amdhsa_fp16_overflow 0
		.amdhsa_exception_fp_ieee_invalid_op 0
		.amdhsa_exception_fp_denorm_src 0
		.amdhsa_exception_fp_ieee_div_zero 0
		.amdhsa_exception_fp_ieee_overflow 0
		.amdhsa_exception_fp_ieee_underflow 0
		.amdhsa_exception_fp_ieee_inexact 0
		.amdhsa_exception_int_div_zero 0
	.end_amdhsa_kernel
	.text
.Lfunc_end0:
	.size	fft_rtc_fwd_len289_factors_17_17_wgs_119_tpt_17_half_op_CI_CI_sbrc_z_xy_diag_dirReg, .Lfunc_end0-fft_rtc_fwd_len289_factors_17_17_wgs_119_tpt_17_half_op_CI_CI_sbrc_z_xy_diag_dirReg
                                        ; -- End function
	.section	.AMDGPU.csdata,"",@progbits
; Kernel info:
; codeLenInByte = 13492
; NumSgprs: 28
; NumVgprs: 76
; ScratchSize: 0
; MemoryBound: 0
; FloatMode: 240
; IeeeMode: 1
; LDSByteSize: 0 bytes/workgroup (compile time only)
; SGPRBlocks: 3
; VGPRBlocks: 18
; NumSGPRsForWavesPerEU: 28
; NumVGPRsForWavesPerEU: 76
; Occupancy: 3
; WaveLimiterHint : 1
; COMPUTE_PGM_RSRC2:SCRATCH_EN: 0
; COMPUTE_PGM_RSRC2:USER_SGPR: 6
; COMPUTE_PGM_RSRC2:TRAP_HANDLER: 0
; COMPUTE_PGM_RSRC2:TGID_X_EN: 1
; COMPUTE_PGM_RSRC2:TGID_Y_EN: 0
; COMPUTE_PGM_RSRC2:TGID_Z_EN: 0
; COMPUTE_PGM_RSRC2:TIDIG_COMP_CNT: 0
	.type	__hip_cuid_2d7c38e4b1a5c10,@object ; @__hip_cuid_2d7c38e4b1a5c10
	.section	.bss,"aw",@nobits
	.globl	__hip_cuid_2d7c38e4b1a5c10
__hip_cuid_2d7c38e4b1a5c10:
	.byte	0                               ; 0x0
	.size	__hip_cuid_2d7c38e4b1a5c10, 1

	.ident	"AMD clang version 19.0.0git (https://github.com/RadeonOpenCompute/llvm-project roc-6.4.0 25133 c7fe45cf4b819c5991fe208aaa96edf142730f1d)"
	.section	".note.GNU-stack","",@progbits
	.addrsig
	.addrsig_sym __hip_cuid_2d7c38e4b1a5c10
	.amdgpu_metadata
---
amdhsa.kernels:
  - .args:
      - .actual_access:  read_only
        .address_space:  global
        .offset:         0
        .size:           8
        .value_kind:     global_buffer
      - .offset:         8
        .size:           8
        .value_kind:     by_value
      - .actual_access:  read_only
        .address_space:  global
        .offset:         16
        .size:           8
        .value_kind:     global_buffer
      - .actual_access:  read_only
        .address_space:  global
        .offset:         24
        .size:           8
        .value_kind:     global_buffer
      - .actual_access:  read_only
        .address_space:  global
        .offset:         32
        .size:           8
        .value_kind:     global_buffer
      - .offset:         40
        .size:           8
        .value_kind:     by_value
      - .actual_access:  read_only
        .address_space:  global
        .offset:         48
        .size:           8
        .value_kind:     global_buffer
      - .actual_access:  read_only
        .address_space:  global
        .offset:         56
        .size:           8
        .value_kind:     global_buffer
      - .offset:         64
        .size:           4
        .value_kind:     by_value
      - .actual_access:  read_only
        .address_space:  global
        .offset:         72
        .size:           8
        .value_kind:     global_buffer
      - .actual_access:  read_only
        .address_space:  global
        .offset:         80
        .size:           8
        .value_kind:     global_buffer
      - .actual_access:  read_only
        .address_space:  global
        .offset:         88
        .size:           8
        .value_kind:     global_buffer
      - .actual_access:  write_only
        .address_space:  global
        .offset:         96
        .size:           8
        .value_kind:     global_buffer
    .group_segment_fixed_size: 0
    .kernarg_segment_align: 8
    .kernarg_segment_size: 104
    .language:       OpenCL C
    .language_version:
      - 2
      - 0
    .max_flat_workgroup_size: 119
    .name:           fft_rtc_fwd_len289_factors_17_17_wgs_119_tpt_17_half_op_CI_CI_sbrc_z_xy_diag_dirReg
    .private_segment_fixed_size: 0
    .sgpr_count:     28
    .sgpr_spill_count: 0
    .symbol:         fft_rtc_fwd_len289_factors_17_17_wgs_119_tpt_17_half_op_CI_CI_sbrc_z_xy_diag_dirReg.kd
    .uniform_work_group_size: 1
    .uses_dynamic_stack: false
    .vgpr_count:     76
    .vgpr_spill_count: 0
    .wavefront_size: 64
amdhsa.target:   amdgcn-amd-amdhsa--gfx906
amdhsa.version:
  - 1
  - 2
...

	.end_amdgpu_metadata
